;; amdgpu-corpus repo=ROCm/rocFFT kind=compiled arch=gfx1201 opt=O3
	.text
	.amdgcn_target "amdgcn-amd-amdhsa--gfx1201"
	.amdhsa_code_object_version 6
	.protected	fft_rtc_fwd_len306_factors_17_2_9_wgs_238_tpt_34_halfLds_dp_op_CI_CI_unitstride_sbrr_C2R_dirReg ; -- Begin function fft_rtc_fwd_len306_factors_17_2_9_wgs_238_tpt_34_halfLds_dp_op_CI_CI_unitstride_sbrr_C2R_dirReg
	.globl	fft_rtc_fwd_len306_factors_17_2_9_wgs_238_tpt_34_halfLds_dp_op_CI_CI_unitstride_sbrr_C2R_dirReg
	.p2align	8
	.type	fft_rtc_fwd_len306_factors_17_2_9_wgs_238_tpt_34_halfLds_dp_op_CI_CI_unitstride_sbrr_C2R_dirReg,@function
fft_rtc_fwd_len306_factors_17_2_9_wgs_238_tpt_34_halfLds_dp_op_CI_CI_unitstride_sbrr_C2R_dirReg: ; @fft_rtc_fwd_len306_factors_17_2_9_wgs_238_tpt_34_halfLds_dp_op_CI_CI_unitstride_sbrr_C2R_dirReg
; %bb.0:
	s_load_b128 s[8:11], s[0:1], 0x0
	v_mul_u32_u24_e32 v1, 0x788, v0
	s_clause 0x1
	s_load_b128 s[4:7], s[0:1], 0x58
	s_load_b128 s[12:15], s[0:1], 0x18
	v_mov_b32_e32 v5, 0
	v_lshrrev_b32_e32 v3, 16, v1
	v_mov_b32_e32 v1, 0
	v_mov_b32_e32 v2, 0
	s_delay_alu instid0(VALU_DEP_3) | instskip(NEXT) | instid1(VALU_DEP_2)
	v_mad_co_u64_u32 v[3:4], null, ttmp9, 7, v[3:4]
	v_dual_mov_b32 v4, v5 :: v_dual_mov_b32 v77, v2
	s_delay_alu instid0(VALU_DEP_1) | instskip(NEXT) | instid1(VALU_DEP_3)
	v_dual_mov_b32 v76, v1 :: v_dual_mov_b32 v79, v4
	v_mov_b32_e32 v78, v3
	s_wait_kmcnt 0x0
	v_cmp_lt_u64_e64 s2, s[10:11], 2
	s_delay_alu instid0(VALU_DEP_1)
	s_and_b32 vcc_lo, exec_lo, s2
	s_cbranch_vccnz .LBB0_8
; %bb.1:
	s_load_b64 s[2:3], s[0:1], 0x10
	v_dual_mov_b32 v1, 0 :: v_dual_mov_b32 v8, v4
	v_dual_mov_b32 v2, 0 :: v_dual_mov_b32 v7, v3
	s_add_nc_u64 s[16:17], s[14:15], 8
	s_add_nc_u64 s[18:19], s[12:13], 8
	s_mov_b64 s[20:21], 1
	s_delay_alu instid0(VALU_DEP_1)
	v_dual_mov_b32 v77, v2 :: v_dual_mov_b32 v76, v1
	s_wait_kmcnt 0x0
	s_add_nc_u64 s[22:23], s[2:3], 8
	s_mov_b32 s3, 0
.LBB0_2:                                ; =>This Inner Loop Header: Depth=1
	s_load_b64 s[24:25], s[22:23], 0x0
                                        ; implicit-def: $vgpr78_vgpr79
	s_mov_b32 s2, exec_lo
	s_wait_kmcnt 0x0
	v_or_b32_e32 v6, s25, v8
	s_delay_alu instid0(VALU_DEP_1)
	v_cmpx_ne_u64_e32 0, v[5:6]
	s_wait_alu 0xfffe
	s_xor_b32 s26, exec_lo, s2
	s_cbranch_execz .LBB0_4
; %bb.3:                                ;   in Loop: Header=BB0_2 Depth=1
	s_cvt_f32_u32 s2, s24
	s_cvt_f32_u32 s27, s25
	s_sub_nc_u64 s[30:31], 0, s[24:25]
	s_wait_alu 0xfffe
	s_delay_alu instid0(SALU_CYCLE_1) | instskip(SKIP_1) | instid1(SALU_CYCLE_2)
	s_fmamk_f32 s2, s27, 0x4f800000, s2
	s_wait_alu 0xfffe
	v_s_rcp_f32 s2, s2
	s_delay_alu instid0(TRANS32_DEP_1) | instskip(SKIP_1) | instid1(SALU_CYCLE_2)
	s_mul_f32 s2, s2, 0x5f7ffffc
	s_wait_alu 0xfffe
	s_mul_f32 s27, s2, 0x2f800000
	s_wait_alu 0xfffe
	s_delay_alu instid0(SALU_CYCLE_2) | instskip(SKIP_1) | instid1(SALU_CYCLE_2)
	s_trunc_f32 s27, s27
	s_wait_alu 0xfffe
	s_fmamk_f32 s2, s27, 0xcf800000, s2
	s_cvt_u32_f32 s29, s27
	s_wait_alu 0xfffe
	s_delay_alu instid0(SALU_CYCLE_1) | instskip(SKIP_1) | instid1(SALU_CYCLE_2)
	s_cvt_u32_f32 s28, s2
	s_wait_alu 0xfffe
	s_mul_u64 s[34:35], s[30:31], s[28:29]
	s_wait_alu 0xfffe
	s_mul_hi_u32 s37, s28, s35
	s_mul_i32 s36, s28, s35
	s_mul_hi_u32 s2, s28, s34
	s_mul_i32 s33, s29, s34
	s_wait_alu 0xfffe
	s_add_nc_u64 s[36:37], s[2:3], s[36:37]
	s_mul_hi_u32 s27, s29, s34
	s_mul_hi_u32 s38, s29, s35
	s_add_co_u32 s2, s36, s33
	s_wait_alu 0xfffe
	s_add_co_ci_u32 s2, s37, s27
	s_mul_i32 s34, s29, s35
	s_add_co_ci_u32 s35, s38, 0
	s_wait_alu 0xfffe
	s_add_nc_u64 s[34:35], s[2:3], s[34:35]
	s_wait_alu 0xfffe
	v_add_co_u32 v4, s2, s28, s34
	s_delay_alu instid0(VALU_DEP_1) | instskip(SKIP_1) | instid1(VALU_DEP_1)
	s_cmp_lg_u32 s2, 0
	s_add_co_ci_u32 s29, s29, s35
	v_readfirstlane_b32 s28, v4
	s_wait_alu 0xfffe
	s_delay_alu instid0(VALU_DEP_1)
	s_mul_u64 s[30:31], s[30:31], s[28:29]
	s_wait_alu 0xfffe
	s_mul_hi_u32 s35, s28, s31
	s_mul_i32 s34, s28, s31
	s_mul_hi_u32 s2, s28, s30
	s_mul_i32 s33, s29, s30
	s_wait_alu 0xfffe
	s_add_nc_u64 s[34:35], s[2:3], s[34:35]
	s_mul_hi_u32 s27, s29, s30
	s_mul_hi_u32 s28, s29, s31
	s_wait_alu 0xfffe
	s_add_co_u32 s2, s34, s33
	s_add_co_ci_u32 s2, s35, s27
	s_mul_i32 s30, s29, s31
	s_add_co_ci_u32 s31, s28, 0
	s_wait_alu 0xfffe
	s_add_nc_u64 s[30:31], s[2:3], s[30:31]
	s_wait_alu 0xfffe
	v_add_co_u32 v4, s2, v4, s30
	s_delay_alu instid0(VALU_DEP_1) | instskip(SKIP_1) | instid1(VALU_DEP_1)
	s_cmp_lg_u32 s2, 0
	s_add_co_ci_u32 s2, s29, s31
	v_mul_hi_u32 v6, v7, v4
	s_wait_alu 0xfffe
	v_mad_co_u64_u32 v[9:10], null, v7, s2, 0
	v_mad_co_u64_u32 v[11:12], null, v8, v4, 0
	;; [unrolled: 1-line block ×3, first 2 shown]
	s_delay_alu instid0(VALU_DEP_3) | instskip(SKIP_1) | instid1(VALU_DEP_4)
	v_add_co_u32 v4, vcc_lo, v6, v9
	s_wait_alu 0xfffd
	v_add_co_ci_u32_e32 v6, vcc_lo, 0, v10, vcc_lo
	s_delay_alu instid0(VALU_DEP_2) | instskip(SKIP_1) | instid1(VALU_DEP_2)
	v_add_co_u32 v4, vcc_lo, v4, v11
	s_wait_alu 0xfffd
	v_add_co_ci_u32_e32 v4, vcc_lo, v6, v12, vcc_lo
	s_wait_alu 0xfffd
	v_add_co_ci_u32_e32 v6, vcc_lo, 0, v14, vcc_lo
	s_delay_alu instid0(VALU_DEP_2) | instskip(SKIP_1) | instid1(VALU_DEP_2)
	v_add_co_u32 v4, vcc_lo, v4, v13
	s_wait_alu 0xfffd
	v_add_co_ci_u32_e32 v6, vcc_lo, 0, v6, vcc_lo
	s_delay_alu instid0(VALU_DEP_2) | instskip(SKIP_1) | instid1(VALU_DEP_3)
	v_mul_lo_u32 v11, s25, v4
	v_mad_co_u64_u32 v[9:10], null, s24, v4, 0
	v_mul_lo_u32 v12, s24, v6
	s_delay_alu instid0(VALU_DEP_2) | instskip(NEXT) | instid1(VALU_DEP_2)
	v_sub_co_u32 v9, vcc_lo, v7, v9
	v_add3_u32 v10, v10, v12, v11
	s_delay_alu instid0(VALU_DEP_1) | instskip(SKIP_1) | instid1(VALU_DEP_1)
	v_sub_nc_u32_e32 v11, v8, v10
	s_wait_alu 0xfffd
	v_subrev_co_ci_u32_e64 v11, s2, s25, v11, vcc_lo
	v_add_co_u32 v12, s2, v4, 2
	s_wait_alu 0xf1ff
	v_add_co_ci_u32_e64 v13, s2, 0, v6, s2
	v_sub_co_u32 v14, s2, v9, s24
	v_sub_co_ci_u32_e32 v10, vcc_lo, v8, v10, vcc_lo
	s_wait_alu 0xf1ff
	v_subrev_co_ci_u32_e64 v11, s2, 0, v11, s2
	s_delay_alu instid0(VALU_DEP_3) | instskip(NEXT) | instid1(VALU_DEP_3)
	v_cmp_le_u32_e32 vcc_lo, s24, v14
	v_cmp_eq_u32_e64 s2, s25, v10
	s_wait_alu 0xfffd
	v_cndmask_b32_e64 v14, 0, -1, vcc_lo
	v_cmp_le_u32_e32 vcc_lo, s25, v11
	s_wait_alu 0xfffd
	v_cndmask_b32_e64 v15, 0, -1, vcc_lo
	v_cmp_le_u32_e32 vcc_lo, s24, v9
	;; [unrolled: 3-line block ×3, first 2 shown]
	s_wait_alu 0xfffd
	v_cndmask_b32_e64 v16, 0, -1, vcc_lo
	v_cmp_eq_u32_e32 vcc_lo, s25, v11
	s_wait_alu 0xf1ff
	s_delay_alu instid0(VALU_DEP_2)
	v_cndmask_b32_e64 v9, v16, v9, s2
	s_wait_alu 0xfffd
	v_cndmask_b32_e32 v11, v15, v14, vcc_lo
	v_add_co_u32 v14, vcc_lo, v4, 1
	s_wait_alu 0xfffd
	v_add_co_ci_u32_e32 v15, vcc_lo, 0, v6, vcc_lo
	s_delay_alu instid0(VALU_DEP_3) | instskip(SKIP_1) | instid1(VALU_DEP_2)
	v_cmp_ne_u32_e32 vcc_lo, 0, v11
	s_wait_alu 0xfffd
	v_dual_cndmask_b32 v10, v15, v13 :: v_dual_cndmask_b32 v11, v14, v12
	v_cmp_ne_u32_e32 vcc_lo, 0, v9
	s_wait_alu 0xfffd
	s_delay_alu instid0(VALU_DEP_2)
	v_dual_cndmask_b32 v79, v6, v10 :: v_dual_cndmask_b32 v78, v4, v11
.LBB0_4:                                ;   in Loop: Header=BB0_2 Depth=1
	s_wait_alu 0xfffe
	s_and_not1_saveexec_b32 s2, s26
	s_cbranch_execz .LBB0_6
; %bb.5:                                ;   in Loop: Header=BB0_2 Depth=1
	v_cvt_f32_u32_e32 v4, s24
	s_sub_co_i32 s26, 0, s24
	v_mov_b32_e32 v79, v5
	s_delay_alu instid0(VALU_DEP_2) | instskip(NEXT) | instid1(TRANS32_DEP_1)
	v_rcp_iflag_f32_e32 v4, v4
	v_mul_f32_e32 v4, 0x4f7ffffe, v4
	s_delay_alu instid0(VALU_DEP_1) | instskip(SKIP_1) | instid1(VALU_DEP_1)
	v_cvt_u32_f32_e32 v4, v4
	s_wait_alu 0xfffe
	v_mul_lo_u32 v6, s26, v4
	s_delay_alu instid0(VALU_DEP_1) | instskip(NEXT) | instid1(VALU_DEP_1)
	v_mul_hi_u32 v6, v4, v6
	v_add_nc_u32_e32 v4, v4, v6
	s_delay_alu instid0(VALU_DEP_1) | instskip(NEXT) | instid1(VALU_DEP_1)
	v_mul_hi_u32 v4, v7, v4
	v_mul_lo_u32 v6, v4, s24
	s_delay_alu instid0(VALU_DEP_1) | instskip(NEXT) | instid1(VALU_DEP_1)
	v_sub_nc_u32_e32 v6, v7, v6
	v_subrev_nc_u32_e32 v10, s24, v6
	v_cmp_le_u32_e32 vcc_lo, s24, v6
	s_wait_alu 0xfffd
	s_delay_alu instid0(VALU_DEP_2) | instskip(NEXT) | instid1(VALU_DEP_1)
	v_dual_cndmask_b32 v6, v6, v10 :: v_dual_add_nc_u32 v9, 1, v4
	v_cndmask_b32_e32 v4, v4, v9, vcc_lo
	s_delay_alu instid0(VALU_DEP_2) | instskip(NEXT) | instid1(VALU_DEP_2)
	v_cmp_le_u32_e32 vcc_lo, s24, v6
	v_add_nc_u32_e32 v9, 1, v4
	s_wait_alu 0xfffd
	s_delay_alu instid0(VALU_DEP_1)
	v_cndmask_b32_e32 v78, v4, v9, vcc_lo
.LBB0_6:                                ;   in Loop: Header=BB0_2 Depth=1
	s_wait_alu 0xfffe
	s_or_b32 exec_lo, exec_lo, s2
	v_mul_lo_u32 v4, v79, s24
	s_delay_alu instid0(VALU_DEP_2)
	v_mul_lo_u32 v6, v78, s25
	s_load_b64 s[26:27], s[18:19], 0x0
	v_mad_co_u64_u32 v[9:10], null, v78, s24, 0
	s_load_b64 s[24:25], s[16:17], 0x0
	s_add_nc_u64 s[20:21], s[20:21], 1
	s_add_nc_u64 s[16:17], s[16:17], 8
	s_wait_alu 0xfffe
	v_cmp_ge_u64_e64 s2, s[20:21], s[10:11]
	s_add_nc_u64 s[18:19], s[18:19], 8
	s_add_nc_u64 s[22:23], s[22:23], 8
	v_add3_u32 v4, v10, v6, v4
	v_sub_co_u32 v6, vcc_lo, v7, v9
	s_wait_alu 0xfffd
	s_delay_alu instid0(VALU_DEP_2) | instskip(SKIP_2) | instid1(VALU_DEP_1)
	v_sub_co_ci_u32_e32 v4, vcc_lo, v8, v4, vcc_lo
	s_and_b32 vcc_lo, exec_lo, s2
	s_wait_kmcnt 0x0
	v_mul_lo_u32 v7, s26, v4
	v_mul_lo_u32 v8, s27, v6
	v_mad_co_u64_u32 v[1:2], null, s26, v6, v[1:2]
	v_mul_lo_u32 v4, s24, v4
	v_mul_lo_u32 v9, s25, v6
	v_mad_co_u64_u32 v[76:77], null, s24, v6, v[76:77]
	s_delay_alu instid0(VALU_DEP_4) | instskip(NEXT) | instid1(VALU_DEP_2)
	v_add3_u32 v2, v8, v2, v7
	v_add3_u32 v77, v9, v77, v4
	s_wait_alu 0xfffe
	s_cbranch_vccnz .LBB0_8
; %bb.7:                                ;   in Loop: Header=BB0_2 Depth=1
	v_dual_mov_b32 v7, v78 :: v_dual_mov_b32 v8, v79
	s_branch .LBB0_2
.LBB0_8:
	v_mul_hi_u32 v4, 0x24924925, v3
	s_load_b64 s[0:1], s[0:1], 0x28
	s_lshl_b64 s[10:11], s[10:11], 3
                                        ; implicit-def: $vgpr80
	s_wait_alu 0xfffe
	s_add_nc_u64 s[2:3], s[14:15], s[10:11]
	s_delay_alu instid0(VALU_DEP_1) | instskip(NEXT) | instid1(VALU_DEP_1)
	v_sub_nc_u32_e32 v5, v3, v4
	v_lshrrev_b32_e32 v5, 1, v5
	s_delay_alu instid0(VALU_DEP_1) | instskip(SKIP_3) | instid1(VALU_DEP_3)
	v_add_nc_u32_e32 v4, v5, v4
	s_wait_kmcnt 0x0
	v_cmp_gt_u64_e32 vcc_lo, s[0:1], v[78:79]
	v_cmp_le_u64_e64 s0, s[0:1], v[78:79]
	v_lshrrev_b32_e32 v4, 2, v4
	s_delay_alu instid0(VALU_DEP_1) | instskip(SKIP_1) | instid1(VALU_DEP_2)
	v_mul_lo_u32 v5, v4, 7
	v_mul_hi_u32 v4, 0x7878788, v0
	v_sub_nc_u32_e32 v3, v3, v5
	s_and_saveexec_b32 s1, s0
	s_wait_alu 0xfffe
	s_xor_b32 s0, exec_lo, s1
; %bb.9:
	s_delay_alu instid0(VALU_DEP_2) | instskip(NEXT) | instid1(VALU_DEP_1)
	v_mul_u32_u24_e32 v1, 34, v4
                                        ; implicit-def: $vgpr4
	v_sub_nc_u32_e32 v80, v0, v1
                                        ; implicit-def: $vgpr0
                                        ; implicit-def: $vgpr1_vgpr2
; %bb.10:
	s_wait_alu 0xfffe
	s_or_saveexec_b32 s1, s0
	s_load_b64 s[2:3], s[2:3], 0x0
	v_mul_u32_u24_e32 v3, 0x133, v3
	s_delay_alu instid0(VALU_DEP_1)
	v_lshlrev_b32_e32 v148, 4, v3
	s_xor_b32 exec_lo, exec_lo, s1
	s_cbranch_execz .LBB0_14
; %bb.11:
	s_add_nc_u64 s[10:11], s[12:13], s[10:11]
	v_lshlrev_b64_e32 v[1:2], 4, v[1:2]
	s_load_b64 s[10:11], s[10:11], 0x0
	s_wait_kmcnt 0x0
	v_mul_lo_u32 v7, s11, v78
	v_mul_lo_u32 v8, s10, v79
	v_mad_co_u64_u32 v[5:6], null, s10, v78, 0
	s_delay_alu instid0(VALU_DEP_1) | instskip(SKIP_1) | instid1(VALU_DEP_2)
	v_add3_u32 v6, v6, v8, v7
	v_mul_u32_u24_e32 v7, 34, v4
	v_lshlrev_b64_e32 v[4:5], 4, v[5:6]
	s_delay_alu instid0(VALU_DEP_2) | instskip(NEXT) | instid1(VALU_DEP_1)
	v_sub_nc_u32_e32 v80, v0, v7
	v_lshlrev_b32_e32 v40, 4, v80
	s_delay_alu instid0(VALU_DEP_3) | instskip(SKIP_1) | instid1(VALU_DEP_4)
	v_add_co_u32 v0, s0, s4, v4
	s_wait_alu 0xf1ff
	v_add_co_ci_u32_e64 v4, s0, s5, v5, s0
	s_mov_b32 s4, exec_lo
	s_delay_alu instid0(VALU_DEP_2) | instskip(SKIP_1) | instid1(VALU_DEP_2)
	v_add_co_u32 v0, s0, v0, v1
	s_wait_alu 0xf1ff
	v_add_co_ci_u32_e64 v1, s0, v4, v2, s0
	v_add3_u32 v2, 0, v148, v40
	s_delay_alu instid0(VALU_DEP_3) | instskip(SKIP_1) | instid1(VALU_DEP_3)
	v_add_co_u32 v36, s0, v0, v40
	s_wait_alu 0xf1ff
	v_add_co_ci_u32_e64 v37, s0, 0, v1, s0
	s_clause 0x8
	global_load_b128 v[4:7], v[36:37], off
	global_load_b128 v[8:11], v[36:37], off offset:544
	global_load_b128 v[12:15], v[36:37], off offset:1088
	;; [unrolled: 1-line block ×8, first 2 shown]
	s_wait_loadcnt 0x8
	ds_store_b128 v2, v[4:7]
	s_wait_loadcnt 0x7
	ds_store_b128 v2, v[8:11] offset:544
	s_wait_loadcnt 0x6
	ds_store_b128 v2, v[12:15] offset:1088
	;; [unrolled: 2-line block ×8, first 2 shown]
	v_cmpx_eq_u32_e32 33, v80
	s_cbranch_execz .LBB0_13
; %bb.12:
	global_load_b128 v[4:7], v[0:1], off offset:4896
	v_mov_b32_e32 v80, 33
	s_wait_loadcnt 0x0
	ds_store_b128 v2, v[4:7] offset:4368
.LBB0_13:
	s_wait_alu 0xfffe
	s_or_b32 exec_lo, exec_lo, s4
.LBB0_14:
	s_delay_alu instid0(SALU_CYCLE_1)
	s_or_b32 exec_lo, exec_lo, s1
	v_lshl_add_u32 v145, v3, 4, 0
	v_lshlrev_b32_e32 v6, 4, v80
	global_wb scope:SCOPE_SE
	s_wait_dscnt 0x0
	s_wait_kmcnt 0x0
	s_barrier_signal -1
	s_barrier_wait -1
	global_inv scope:SCOPE_SE
	v_add_nc_u32_e32 v146, v145, v6
	v_sub_nc_u32_e32 v7, v145, v6
	s_mov_b32 s1, exec_lo
	ds_load_b64 v[2:3], v146
	ds_load_b64 v[4:5], v7 offset:4896
	s_wait_dscnt 0x0
	v_add_f64_e32 v[0:1], v[2:3], v[4:5]
	v_add_f64_e64 v[2:3], v[2:3], -v[4:5]
                                        ; implicit-def: $vgpr4_vgpr5
	v_cmpx_ne_u32_e32 0, v80
	s_wait_alu 0xfffe
	s_xor_b32 s1, exec_lo, s1
	s_cbranch_execz .LBB0_16
; %bb.15:
	v_mov_b32_e32 v81, 0
	s_delay_alu instid0(VALU_DEP_1) | instskip(NEXT) | instid1(VALU_DEP_1)
	v_lshlrev_b64_e32 v[4:5], 4, v[80:81]
	v_add_co_u32 v4, s0, s8, v4
	s_wait_alu 0xf1ff
	s_delay_alu instid0(VALU_DEP_2)
	v_add_co_ci_u32_e64 v5, s0, s9, v5, s0
	global_load_b128 v[8:11], v[4:5], off offset:4624
	ds_load_b64 v[4:5], v7 offset:4904
	ds_load_b64 v[12:13], v146 offset:8
	s_wait_dscnt 0x0
	v_add_f64_e32 v[14:15], v[4:5], v[12:13]
	v_add_f64_e64 v[4:5], v[12:13], -v[4:5]
	s_wait_loadcnt 0x0
	v_fma_f64 v[12:13], v[2:3], v[10:11], v[0:1]
	s_delay_alu instid0(VALU_DEP_2) | instskip(SKIP_2) | instid1(VALU_DEP_4)
	v_fma_f64 v[16:17], v[14:15], v[10:11], v[4:5]
	v_fma_f64 v[0:1], -v[2:3], v[10:11], v[0:1]
	v_fma_f64 v[4:5], v[14:15], v[10:11], -v[4:5]
	v_fma_f64 v[10:11], -v[14:15], v[8:9], v[12:13]
	s_delay_alu instid0(VALU_DEP_4) | instskip(NEXT) | instid1(VALU_DEP_4)
	v_fma_f64 v[12:13], v[2:3], v[8:9], v[16:17]
	v_fma_f64 v[0:1], v[14:15], v[8:9], v[0:1]
	s_delay_alu instid0(VALU_DEP_4)
	v_fma_f64 v[2:3], v[2:3], v[8:9], v[4:5]
	v_dual_mov_b32 v4, v80 :: v_dual_mov_b32 v5, v81
	ds_store_b128 v146, v[10:13]
	ds_store_b128 v7, v[0:3] offset:4896
                                        ; implicit-def: $vgpr0_vgpr1
.LBB0_16:
	s_wait_alu 0xfffe
	s_and_not1_saveexec_b32 s0, s1
	s_cbranch_execz .LBB0_18
; %bb.17:
	ds_store_b128 v146, v[0:3]
	ds_load_b128 v[0:3], v145 offset:2448
	v_mov_b32_e32 v4, 0
	v_mov_b32_e32 v5, 0
	s_wait_dscnt 0x0
	v_add_f64_e32 v[0:1], v[0:1], v[0:1]
	v_mul_f64_e32 v[2:3], -2.0, v[2:3]
	ds_store_b128 v145, v[0:3] offset:2448
.LBB0_18:
	s_wait_alu 0xfffe
	s_or_b32 exec_lo, exec_lo, s0
	v_lshlrev_b64_e32 v[0:1], 4, v[4:5]
	s_add_nc_u64 s[0:1], s[8:9], 0x1210
	s_wait_alu 0xfffe
	s_delay_alu instid0(VALU_DEP_1) | instskip(SKIP_1) | instid1(VALU_DEP_2)
	v_add_co_u32 v0, s0, s0, v0
	s_wait_alu 0xf1ff
	v_add_co_ci_u32_e64 v1, s0, s1, v1, s0
	v_cmp_gt_u32_e64 s0, 17, v80
	s_clause 0x1
	global_load_b128 v[2:5], v[0:1], off offset:544
	global_load_b128 v[8:11], v[0:1], off offset:1088
	ds_load_b128 v[12:15], v146 offset:544
	ds_load_b128 v[16:19], v7 offset:4352
	global_load_b128 v[20:23], v[0:1], off offset:1632
	s_wait_dscnt 0x0
	v_add_f64_e32 v[24:25], v[12:13], v[16:17]
	v_add_f64_e32 v[26:27], v[18:19], v[14:15]
	v_add_f64_e64 v[28:29], v[12:13], -v[16:17]
	v_add_f64_e64 v[12:13], v[14:15], -v[18:19]
	s_wait_loadcnt 0x2
	s_delay_alu instid0(VALU_DEP_2) | instskip(NEXT) | instid1(VALU_DEP_2)
	v_fma_f64 v[14:15], v[28:29], v[4:5], v[24:25]
	v_fma_f64 v[16:17], v[26:27], v[4:5], v[12:13]
	v_fma_f64 v[18:19], -v[28:29], v[4:5], v[24:25]
	v_fma_f64 v[4:5], v[26:27], v[4:5], -v[12:13]
	s_delay_alu instid0(VALU_DEP_4) | instskip(NEXT) | instid1(VALU_DEP_4)
	v_fma_f64 v[12:13], -v[26:27], v[2:3], v[14:15]
	v_fma_f64 v[14:15], v[28:29], v[2:3], v[16:17]
	s_delay_alu instid0(VALU_DEP_4) | instskip(NEXT) | instid1(VALU_DEP_4)
	v_fma_f64 v[16:17], v[26:27], v[2:3], v[18:19]
	v_fma_f64 v[18:19], v[28:29], v[2:3], v[4:5]
	ds_store_b128 v146, v[12:15] offset:544
	ds_store_b128 v7, v[16:19] offset:4352
	ds_load_b128 v[2:5], v146 offset:1088
	ds_load_b128 v[12:15], v7 offset:3808
	s_wait_dscnt 0x0
	v_add_f64_e32 v[16:17], v[2:3], v[12:13]
	v_add_f64_e32 v[18:19], v[14:15], v[4:5]
	v_add_f64_e64 v[12:13], v[2:3], -v[12:13]
	v_add_f64_e64 v[2:3], v[4:5], -v[14:15]
	s_wait_loadcnt 0x1
	s_delay_alu instid0(VALU_DEP_2) | instskip(NEXT) | instid1(VALU_DEP_2)
	v_fma_f64 v[4:5], v[12:13], v[10:11], v[16:17]
	v_fma_f64 v[14:15], v[18:19], v[10:11], v[2:3]
	v_fma_f64 v[16:17], -v[12:13], v[10:11], v[16:17]
	v_fma_f64 v[24:25], v[18:19], v[10:11], -v[2:3]
	s_delay_alu instid0(VALU_DEP_4) | instskip(NEXT) | instid1(VALU_DEP_4)
	v_fma_f64 v[2:3], -v[18:19], v[8:9], v[4:5]
	v_fma_f64 v[4:5], v[12:13], v[8:9], v[14:15]
	s_delay_alu instid0(VALU_DEP_4) | instskip(NEXT) | instid1(VALU_DEP_4)
	v_fma_f64 v[10:11], v[18:19], v[8:9], v[16:17]
	v_fma_f64 v[12:13], v[12:13], v[8:9], v[24:25]
	ds_store_b128 v146, v[2:5] offset:1088
	ds_store_b128 v7, v[10:13] offset:3808
	ds_load_b128 v[2:5], v146 offset:1632
	ds_load_b128 v[8:11], v7 offset:3264
	s_wait_dscnt 0x0
	v_add_f64_e32 v[12:13], v[2:3], v[8:9]
	v_add_f64_e32 v[14:15], v[10:11], v[4:5]
	v_add_f64_e64 v[16:17], v[2:3], -v[8:9]
	v_add_f64_e64 v[2:3], v[4:5], -v[10:11]
	s_wait_loadcnt 0x0
	s_delay_alu instid0(VALU_DEP_2) | instskip(NEXT) | instid1(VALU_DEP_2)
	v_fma_f64 v[4:5], v[16:17], v[22:23], v[12:13]
	v_fma_f64 v[8:9], v[14:15], v[22:23], v[2:3]
	v_fma_f64 v[10:11], -v[16:17], v[22:23], v[12:13]
	v_fma_f64 v[12:13], v[14:15], v[22:23], -v[2:3]
	s_delay_alu instid0(VALU_DEP_4) | instskip(NEXT) | instid1(VALU_DEP_4)
	v_fma_f64 v[2:3], -v[14:15], v[20:21], v[4:5]
	v_fma_f64 v[4:5], v[16:17], v[20:21], v[8:9]
	s_delay_alu instid0(VALU_DEP_4) | instskip(NEXT) | instid1(VALU_DEP_4)
	v_fma_f64 v[8:9], v[14:15], v[20:21], v[10:11]
	v_fma_f64 v[10:11], v[16:17], v[20:21], v[12:13]
	ds_store_b128 v146, v[2:5] offset:1632
	ds_store_b128 v7, v[8:11] offset:3264
	s_and_saveexec_b32 s1, s0
	s_cbranch_execz .LBB0_20
; %bb.19:
	global_load_b128 v[0:3], v[0:1], off offset:2176
	ds_load_b128 v[8:11], v146 offset:2176
	ds_load_b128 v[12:15], v7 offset:2720
	s_wait_dscnt 0x0
	v_add_f64_e32 v[4:5], v[8:9], v[12:13]
	v_add_f64_e32 v[16:17], v[14:15], v[10:11]
	v_add_f64_e64 v[12:13], v[8:9], -v[12:13]
	v_add_f64_e64 v[8:9], v[10:11], -v[14:15]
	s_wait_loadcnt 0x0
	s_delay_alu instid0(VALU_DEP_2) | instskip(NEXT) | instid1(VALU_DEP_2)
	v_fma_f64 v[10:11], v[12:13], v[2:3], v[4:5]
	v_fma_f64 v[14:15], v[16:17], v[2:3], v[8:9]
	v_fma_f64 v[18:19], -v[12:13], v[2:3], v[4:5]
	v_fma_f64 v[20:21], v[16:17], v[2:3], -v[8:9]
	s_delay_alu instid0(VALU_DEP_4) | instskip(NEXT) | instid1(VALU_DEP_4)
	v_fma_f64 v[2:3], -v[16:17], v[0:1], v[10:11]
	v_fma_f64 v[4:5], v[12:13], v[0:1], v[14:15]
	s_delay_alu instid0(VALU_DEP_4) | instskip(NEXT) | instid1(VALU_DEP_4)
	v_fma_f64 v[8:9], v[16:17], v[0:1], v[18:19]
	v_fma_f64 v[10:11], v[12:13], v[0:1], v[20:21]
	ds_store_b128 v146, v[2:5] offset:2176
	ds_store_b128 v7, v[8:11] offset:2720
.LBB0_20:
	s_wait_alu 0xfffe
	s_or_b32 exec_lo, exec_lo, s1
	v_add3_u32 v147, 0, v6, v148
	global_wb scope:SCOPE_SE
	s_wait_dscnt 0x0
	s_barrier_signal -1
	s_barrier_wait -1
	global_inv scope:SCOPE_SE
	global_wb scope:SCOPE_SE
	s_barrier_signal -1
	s_barrier_wait -1
	global_inv scope:SCOPE_SE
	ds_load_b128 v[12:15], v147 offset:4608
	ds_load_b128 v[32:35], v147 offset:288
	ds_load_b128 v[8:11], v146
	ds_load_b128 v[16:19], v147 offset:4320
	ds_load_b128 v[44:47], v147 offset:576
	;; [unrolled: 1-line block ×4, first 2 shown]
	s_mov_b32 s12, 0xacd6c6b4
	s_mov_b32 s13, 0xbfc7851a
	s_mov_b32 s10, 0x5d8e7cdc
	s_mov_b32 s4, 0x7faef3
	s_mov_b32 s11, 0x3fd71e95
	s_mov_b32 s5, 0xbfef7484
	ds_load_b128 v[24:27], v147 offset:3744
	ds_load_b128 v[60:63], v147 offset:1152
	s_mov_b32 s16, 0x370991
	s_mov_b32 s18, 0x4363dd80
	;; [unrolled: 1-line block ×4, first 2 shown]
	ds_load_b128 v[64:67], v147 offset:1440
	ds_load_b128 v[28:31], v147 offset:3456
	s_mov_b32 s14, 0x910ea3b9
	s_mov_b32 s20, 0x2a9d6da3
	;; [unrolled: 1-line block ×5, first 2 shown]
	s_wait_dscnt 0x9
	v_add_f64_e64 v[139:140], v[34:35], -v[14:15]
	v_add_f64_e64 v[141:142], v[32:33], -v[12:13]
	s_wait_dscnt 0x6
	v_add_f64_e64 v[87:88], v[46:47], -v[18:19]
	v_add_f64_e64 v[81:82], v[44:45], -v[16:17]
	v_add_f64_e32 v[137:138], v[32:33], v[12:13]
	v_add_f64_e32 v[143:144], v[34:35], v[14:15]
	;; [unrolled: 1-line block ×4, first 2 shown]
	s_wait_dscnt 0x4
	v_add_f64_e64 v[89:90], v[42:43], -v[22:23]
	v_add_f64_e64 v[85:86], v[40:41], -v[20:21]
	v_add_f64_e32 v[93:94], v[40:41], v[20:21]
	v_add_f64_e32 v[117:118], v[42:43], v[22:23]
	s_wait_dscnt 0x2
	v_add_f64_e64 v[115:116], v[62:63], -v[26:27]
	v_add_f64_e64 v[95:96], v[60:61], -v[24:25]
	v_add_f64_e32 v[97:98], v[60:61], v[24:25]
	v_add_f64_e32 v[121:122], v[62:63], v[26:27]
	s_wait_dscnt 0x0
	v_add_f64_e64 v[119:120], v[66:67], -v[30:31]
	v_add_f64_e64 v[99:100], v[64:65], -v[28:29]
	s_mov_b32 s38, 0x6c9a05f6
	s_mov_b32 s23, 0x3fe7a5f6
	s_mov_b32 s39, 0xbfe9895b
	v_add_f64_e32 v[101:102], v[64:65], v[28:29]
	v_add_f64_e32 v[125:126], v[66:67], v[30:31]
	s_mov_b32 s24, 0x6ed5f1bb
	s_mov_b32 s26, 0x7c9e640b
	s_mov_b32 s25, 0xbfe348c8
	s_mov_b32 s27, 0x3feca52d
	s_mov_b32 s28, 0x2b2883cd
	s_mov_b32 s34, 0x923c349f
	s_mov_b32 s29, 0x3fdc86fa
	s_mov_b32 s35, 0xbfeec746
	s_mov_b32 s30, 0xc61f0d01
	s_mov_b32 s36, 0xeb564b22
	s_mov_b32 s31, 0xbfd183b1
	s_mov_b32 s37, 0x3fefdd0d
	s_mov_b32 s40, 0x3259b75e
	s_mov_b32 s41, 0x3fb79ee6
	s_mov_b32 s33, exec_lo
	v_mul_f64_e32 v[0:1], s[12:13], v[139:140]
	v_mul_f64_e32 v[2:3], s[12:13], v[141:142]
	s_wait_alu 0xfffe
	v_mul_f64_e32 v[4:5], s[10:11], v[87:88]
	v_mul_f64_e32 v[6:7], s[10:11], v[81:82]
	v_mul_f64_e32 v[48:49], s[18:19], v[89:90]
	v_mul_f64_e32 v[50:51], s[18:19], v[85:86]
	v_mul_f64_e32 v[56:57], s[20:21], v[115:116]
	v_mul_f64_e32 v[58:59], s[20:21], v[95:96]
	v_fma_f64 v[36:37], v[137:138], s[4:5], -v[0:1]
	v_fma_f64 v[38:39], v[143:144], s[4:5], v[2:3]
	v_fma_f64 v[0:1], v[137:138], s[4:5], v[0:1]
	v_fma_f64 v[2:3], v[143:144], s[4:5], -v[2:3]
	v_fma_f64 v[52:53], v[83:84], s[16:17], -v[4:5]
	v_fma_f64 v[54:55], v[91:92], s[16:17], v[6:7]
	v_fma_f64 v[4:5], v[83:84], s[16:17], v[4:5]
	v_fma_f64 v[6:7], v[91:92], s[16:17], -v[6:7]
	;; [unrolled: 4-line block ×4, first 2 shown]
	v_add_f64_e32 v[36:37], v[8:9], v[36:37]
	v_add_f64_e32 v[38:39], v[10:11], v[38:39]
	v_add_f64_e32 v[0:1], v[8:9], v[0:1]
	v_add_f64_e32 v[2:3], v[10:11], v[2:3]
	s_delay_alu instid0(VALU_DEP_4) | instskip(NEXT) | instid1(VALU_DEP_4)
	v_add_f64_e32 v[52:53], v[52:53], v[36:37]
	v_add_f64_e32 v[54:55], v[54:55], v[38:39]
	s_delay_alu instid0(VALU_DEP_4) | instskip(NEXT) | instid1(VALU_DEP_4)
	v_add_f64_e32 v[0:1], v[4:5], v[0:1]
	v_add_f64_e32 v[2:3], v[6:7], v[2:3]
	ds_load_b128 v[36:39], v147 offset:3168
	ds_load_b128 v[72:75], v147 offset:1728
	v_mul_f64_e32 v[4:5], s[38:39], v[119:120]
	v_mul_f64_e32 v[6:7], s[38:39], v[99:100]
	ds_load_b128 v[68:71], v147 offset:2016
	ds_load_b128 v[48:51], v147 offset:2880
	s_wait_dscnt 0x2
	v_add_f64_e64 v[123:124], v[74:75], -v[38:39]
	v_add_f64_e64 v[103:104], v[72:73], -v[36:37]
	v_add_f64_e32 v[129:130], v[74:75], v[38:39]
	s_wait_dscnt 0x0
	v_add_f64_e64 v[127:128], v[70:71], -v[50:51]
	v_add_f64_e32 v[133:134], v[70:71], v[50:51]
	v_add_f64_e32 v[52:53], v[105:106], v[52:53]
	v_add_f64_e32 v[54:55], v[107:108], v[54:55]
	v_add_f64_e32 v[0:1], v[109:110], v[0:1]
	v_add_f64_e32 v[2:3], v[111:112], v[2:3]
	v_add_f64_e32 v[105:106], v[72:73], v[36:37]
	v_add_f64_e64 v[107:108], v[68:69], -v[48:49]
	v_fma_f64 v[151:152], v[101:102], s[24:25], -v[4:5]
	v_fma_f64 v[153:154], v[125:126], s[24:25], v[6:7]
	v_fma_f64 v[4:5], v[101:102], s[24:25], v[4:5]
	v_fma_f64 v[6:7], v[125:126], s[24:25], -v[6:7]
	v_add_f64_e32 v[109:110], v[68:69], v[48:49]
	v_mul_f64_e32 v[135:136], s[26:27], v[123:124]
	v_mul_f64_e32 v[149:150], s[26:27], v[103:104]
	;; [unrolled: 1-line block ×3, first 2 shown]
	v_add_f64_e32 v[113:114], v[113:114], v[52:53]
	v_add_f64_e32 v[155:156], v[131:132], v[54:55]
	;; [unrolled: 1-line block ×4, first 2 shown]
	ds_load_b128 v[56:59], v147 offset:2304
	ds_load_b128 v[52:55], v147 offset:2592
	v_mul_f64_e32 v[159:160], s[34:35], v[107:108]
	global_wb scope:SCOPE_SE
	s_wait_dscnt 0x0
	s_barrier_signal -1
	s_barrier_wait -1
	global_inv scope:SCOPE_SE
	v_add_f64_e64 v[131:132], v[58:59], -v[54:55]
	v_add_f64_e64 v[111:112], v[56:57], -v[52:53]
	v_fma_f64 v[161:162], v[105:106], s[28:29], -v[135:136]
	v_fma_f64 v[163:164], v[129:130], s[28:29], v[149:150]
	v_fma_f64 v[165:166], v[105:106], s[28:29], v[135:136]
	v_fma_f64 v[149:150], v[129:130], s[28:29], -v[149:150]
	v_add_f64_e32 v[135:136], v[58:59], v[54:55]
	v_add_f64_e32 v[151:152], v[151:152], v[113:114]
	;; [unrolled: 1-line block ×6, first 2 shown]
	v_fma_f64 v[155:156], v[109:110], s[30:31], -v[157:158]
	v_fma_f64 v[167:168], v[133:134], s[30:31], v[159:160]
	v_fma_f64 v[157:158], v[109:110], s[30:31], v[157:158]
	v_fma_f64 v[159:160], v[133:134], s[30:31], -v[159:160]
	v_mul_f64_e32 v[4:5], s[36:37], v[131:132]
	v_mul_f64_e32 v[6:7], s[36:37], v[111:112]
	v_add_f64_e32 v[151:152], v[161:162], v[151:152]
	v_add_f64_e32 v[153:154], v[163:164], v[153:154]
	;; [unrolled: 1-line block ×4, first 2 shown]
	v_fma_f64 v[149:150], v[113:114], s[40:41], -v[4:5]
	v_fma_f64 v[161:162], v[135:136], s[40:41], v[6:7]
	v_fma_f64 v[4:5], v[113:114], s[40:41], v[4:5]
	v_fma_f64 v[6:7], v[135:136], s[40:41], -v[6:7]
	v_add_f64_e32 v[151:152], v[155:156], v[151:152]
	v_add_f64_e32 v[153:154], v[167:168], v[153:154]
	;; [unrolled: 1-line block ×4, first 2 shown]
	s_delay_alu instid0(VALU_DEP_4) | instskip(NEXT) | instid1(VALU_DEP_4)
	v_add_f64_e32 v[0:1], v[149:150], v[151:152]
	v_add_f64_e32 v[2:3], v[161:162], v[153:154]
	s_delay_alu instid0(VALU_DEP_4) | instskip(NEXT) | instid1(VALU_DEP_4)
	v_add_f64_e32 v[4:5], v[4:5], v[155:156]
	v_add_f64_e32 v[6:7], v[6:7], v[157:158]
	v_cmpx_gt_u32_e32 18, v80
	s_cbranch_execz .LBB0_22
; %bb.21:
	v_add_f64_e32 v[34:35], v[10:11], v[34:35]
	v_add_f64_e32 v[32:33], v[8:9], v[32:33]
	s_mov_b32 s53, 0xbfe58eea
	s_mov_b32 s52, s20
	;; [unrolled: 1-line block ×16, first 2 shown]
	v_mul_f64_e32 v[159:160], s[30:31], v[135:136]
	v_mul_f64_e32 v[161:162], s[34:35], v[131:132]
	;; [unrolled: 1-line block ×20, first 2 shown]
	v_add_f64_e32 v[34:35], v[34:35], v[46:47]
	v_add_f64_e32 v[32:33], v[32:33], v[44:45]
	v_mul_f64_e32 v[44:45], s[18:19], v[139:140]
	v_mul_f64_e32 v[46:47], s[38:39], v[139:140]
	;; [unrolled: 1-line block ×4, first 2 shown]
	v_add_f64_e32 v[34:35], v[34:35], v[42:43]
	v_add_f64_e32 v[32:33], v[32:33], v[40:41]
	s_delay_alu instid0(VALU_DEP_2) | instskip(NEXT) | instid1(VALU_DEP_2)
	v_add_f64_e32 v[34:35], v[34:35], v[62:63]
	v_add_f64_e32 v[32:33], v[32:33], v[60:61]
	v_fma_f64 v[60:61], v[137:138], s[24:25], v[46:47]
	v_fma_f64 v[46:47], v[137:138], s[24:25], -v[46:47]
	s_delay_alu instid0(VALU_DEP_4) | instskip(NEXT) | instid1(VALU_DEP_4)
	v_add_f64_e32 v[34:35], v[34:35], v[66:67]
	v_add_f64_e32 v[32:33], v[32:33], v[64:65]
	s_delay_alu instid0(VALU_DEP_4) | instskip(NEXT) | instid1(VALU_DEP_4)
	v_add_f64_e32 v[60:61], v[8:9], v[60:61]
	v_add_f64_e32 v[46:47], v[8:9], v[46:47]
	;; [unrolled: 3-line block ×3, first 2 shown]
	s_delay_alu instid0(VALU_DEP_2) | instskip(NEXT) | instid1(VALU_DEP_2)
	v_add_f64_e32 v[34:35], v[34:35], v[70:71]
	v_add_f64_e32 v[32:33], v[32:33], v[68:69]
	s_delay_alu instid0(VALU_DEP_2) | instskip(NEXT) | instid1(VALU_DEP_2)
	v_add_f64_e32 v[34:35], v[34:35], v[58:59]
	v_add_f64_e32 v[32:33], v[32:33], v[56:57]
	v_mul_f64_e32 v[56:57], s[50:51], v[139:140]
	v_fma_f64 v[58:59], v[137:138], s[14:15], v[44:45]
	v_fma_f64 v[44:45], v[137:138], s[14:15], -v[44:45]
	v_add_f64_e32 v[34:35], v[34:35], v[54:55]
	v_add_f64_e32 v[32:33], v[32:33], v[52:53]
	v_mul_f64_e32 v[52:53], s[48:49], v[139:140]
	v_mul_f64_e32 v[54:55], s[52:53], v[139:140]
	v_fma_f64 v[70:71], v[137:138], s[16:17], v[56:57]
	v_fma_f64 v[56:57], v[137:138], s[16:17], -v[56:57]
	v_add_f64_e32 v[58:59], v[8:9], v[58:59]
	v_add_f64_e32 v[44:45], v[8:9], v[44:45]
	;; [unrolled: 1-line block ×4, first 2 shown]
	v_mul_f64_e32 v[48:49], s[34:35], v[139:140]
	v_mul_f64_e32 v[50:51], s[56:57], v[139:140]
	v_fma_f64 v[66:67], v[137:138], s[28:29], v[52:53]
	v_fma_f64 v[52:53], v[137:138], s[28:29], -v[52:53]
	v_fma_f64 v[68:69], v[137:138], s[22:23], v[54:55]
	v_fma_f64 v[54:55], v[137:138], s[22:23], -v[54:55]
	v_add_f64_e32 v[70:71], v[8:9], v[70:71]
	v_add_f64_e32 v[34:35], v[34:35], v[38:39]
	;; [unrolled: 1-line block ×3, first 2 shown]
	v_fma_f64 v[62:63], v[137:138], s[30:31], v[48:49]
	v_fma_f64 v[48:49], v[137:138], s[30:31], -v[48:49]
	v_fma_f64 v[64:65], v[137:138], s[40:41], v[50:51]
	v_fma_f64 v[50:51], v[137:138], s[40:41], -v[50:51]
	v_add_f64_e32 v[66:67], v[8:9], v[66:67]
	v_add_f64_e32 v[52:53], v[8:9], v[52:53]
	;; [unrolled: 1-line block ×11, first 2 shown]
	v_mul_f64_e32 v[28:29], s[16:17], v[143:144]
	s_delay_alu instid0(VALU_DEP_3) | instskip(NEXT) | instid1(VALU_DEP_3)
	v_add_f64_e32 v[22:23], v[26:27], v[22:23]
	v_add_f64_e32 v[20:21], v[24:25], v[20:21]
	v_mul_f64_e32 v[24:25], s[28:29], v[143:144]
	v_mul_f64_e32 v[26:27], s[22:23], v[143:144]
	v_fma_f64 v[42:43], v[141:142], s[10:11], v[28:29]
	v_fma_f64 v[28:29], v[141:142], s[50:51], v[28:29]
	v_add_f64_e32 v[18:19], v[22:23], v[18:19]
	v_add_f64_e32 v[16:17], v[20:21], v[16:17]
	v_mul_f64_e32 v[22:23], s[40:41], v[143:144]
	v_mul_f64_e32 v[20:21], s[30:31], v[143:144]
	v_fma_f64 v[38:39], v[141:142], s[26:27], v[24:25]
	v_fma_f64 v[24:25], v[141:142], s[48:49], v[24:25]
	;; [unrolled: 1-line block ×4, first 2 shown]
	v_add_f64_e32 v[151:152], v[10:11], v[42:43]
	v_add_f64_e32 v[42:43], v[8:9], v[54:55]
	;; [unrolled: 1-line block ×3, first 2 shown]
	v_mul_f64_e32 v[18:19], s[24:25], v[143:144]
	v_add_f64_e32 v[12:13], v[16:17], v[12:13]
	v_mul_f64_e32 v[16:17], s[14:15], v[143:144]
	v_fma_f64 v[36:37], v[141:142], s[36:37], v[22:23]
	v_fma_f64 v[22:23], v[141:142], s[56:57], v[22:23]
	;; [unrolled: 1-line block ×4, first 2 shown]
	v_add_f64_e32 v[143:144], v[10:11], v[24:25]
	v_add_f64_e32 v[149:150], v[10:11], v[40:41]
	;; [unrolled: 1-line block ×3, first 2 shown]
	v_fma_f64 v[32:33], v[141:142], s[46:47], v[18:19]
	v_fma_f64 v[18:19], v[141:142], s[38:39], v[18:19]
	;; [unrolled: 1-line block ×4, first 2 shown]
	v_add_f64_e32 v[139:140], v[10:11], v[22:23]
	v_add_f64_e32 v[141:142], v[10:11], v[38:39]
	;; [unrolled: 1-line block ×3, first 2 shown]
	v_mul_f64_e32 v[22:23], s[40:41], v[117:118]
	v_add_f64_e32 v[74:75], v[10:11], v[20:21]
	v_mul_f64_e32 v[20:21], s[26:27], v[87:88]
	v_add_f64_e32 v[34:35], v[10:11], v[34:35]
	v_add_f64_e32 v[137:138], v[10:11], v[36:37]
	v_add_f64_e32 v[36:37], v[10:11], v[28:29]
	v_add_f64_e32 v[32:33], v[10:11], v[32:33]
	v_add_f64_e32 v[72:73], v[10:11], v[18:19]
	v_mul_f64_e32 v[18:19], s[28:29], v[91:92]
	v_add_f64_e32 v[30:31], v[10:11], v[30:31]
	v_add_f64_e32 v[16:17], v[10:11], v[16:17]
	v_fma_f64 v[24:25], v[85:86], s[36:37], v[22:23]
	v_fma_f64 v[10:11], v[83:84], s[28:29], v[20:21]
	;; [unrolled: 1-line block ×4, first 2 shown]
	s_delay_alu instid0(VALU_DEP_3) | instskip(NEXT) | instid1(VALU_DEP_3)
	v_add_f64_e32 v[10:11], v[10:11], v[58:59]
	v_add_f64_e32 v[8:9], v[8:9], v[30:31]
	s_delay_alu instid0(VALU_DEP_3)
	v_add_f64_e32 v[16:17], v[18:19], v[16:17]
	v_fma_f64 v[18:19], v[83:84], s[28:29], -v[20:21]
	v_fma_f64 v[20:21], v[85:86], s[56:57], v[22:23]
	v_fma_f64 v[22:23], v[113:114], s[30:31], -v[161:162]
	v_add_f64_e32 v[8:9], v[24:25], v[8:9]
	v_mul_f64_e32 v[24:25], s[56:57], v[89:90]
	v_add_f64_e32 v[18:19], v[18:19], v[44:45]
	v_add_f64_e32 v[16:17], v[20:21], v[16:17]
	v_mul_f64_e32 v[44:45], s[50:51], v[89:90]
	s_delay_alu instid0(VALU_DEP_4) | instskip(SKIP_1) | instid1(VALU_DEP_2)
	v_fma_f64 v[26:27], v[93:94], s[40:41], v[24:25]
	v_fma_f64 v[20:21], v[93:94], s[40:41], -v[24:25]
	v_add_f64_e32 v[10:11], v[26:27], v[10:11]
	v_mul_f64_e32 v[26:27], s[24:25], v[121:122]
	s_delay_alu instid0(VALU_DEP_3) | instskip(NEXT) | instid1(VALU_DEP_2)
	v_add_f64_e32 v[18:19], v[20:21], v[18:19]
	v_fma_f64 v[28:29], v[95:96], s[38:39], v[26:27]
	v_fma_f64 v[20:21], v[95:96], s[46:47], v[26:27]
	s_delay_alu instid0(VALU_DEP_2) | instskip(SKIP_1) | instid1(VALU_DEP_3)
	v_add_f64_e32 v[8:9], v[28:29], v[8:9]
	v_mul_f64_e32 v[28:29], s[46:47], v[115:116]
	v_add_f64_e32 v[16:17], v[20:21], v[16:17]
	s_delay_alu instid0(VALU_DEP_2) | instskip(SKIP_2) | instid1(VALU_DEP_3)
	v_fma_f64 v[30:31], v[97:98], s[24:25], v[28:29]
	v_fma_f64 v[20:21], v[97:98], s[24:25], -v[28:29]
	v_mul_f64_e32 v[28:29], s[30:31], v[91:92]
	v_add_f64_e32 v[10:11], v[30:31], v[10:11]
	v_mul_f64_e32 v[30:31], s[16:17], v[125:126]
	s_delay_alu instid0(VALU_DEP_4) | instskip(NEXT) | instid1(VALU_DEP_2)
	v_add_f64_e32 v[18:19], v[20:21], v[18:19]
	v_fma_f64 v[54:55], v[99:100], s[10:11], v[30:31]
	v_fma_f64 v[20:21], v[99:100], s[50:51], v[30:31]
	v_mul_f64_e32 v[30:31], s[44:45], v[87:88]
	s_delay_alu instid0(VALU_DEP_3) | instskip(SKIP_1) | instid1(VALU_DEP_4)
	v_add_f64_e32 v[8:9], v[54:55], v[8:9]
	v_mul_f64_e32 v[54:55], s[50:51], v[119:120]
	v_add_f64_e32 v[16:17], v[20:21], v[16:17]
	s_delay_alu instid0(VALU_DEP_2) | instskip(SKIP_2) | instid1(VALU_DEP_3)
	v_fma_f64 v[56:57], v[101:102], s[16:17], v[54:55]
	v_fma_f64 v[20:21], v[101:102], s[16:17], -v[54:55]
	v_mul_f64_e32 v[54:55], s[14:15], v[121:122]
	v_add_f64_e32 v[10:11], v[56:57], v[10:11]
	v_mul_f64_e32 v[56:57], s[4:5], v[129:130]
	s_delay_alu instid0(VALU_DEP_4) | instskip(NEXT) | instid1(VALU_DEP_2)
	v_add_f64_e32 v[18:19], v[20:21], v[18:19]
	v_fma_f64 v[58:59], v[103:104], s[54:55], v[56:57]
	v_fma_f64 v[20:21], v[103:104], s[12:13], v[56:57]
	v_mul_f64_e32 v[56:57], s[18:19], v[115:116]
	s_delay_alu instid0(VALU_DEP_3) | instskip(SKIP_1) | instid1(VALU_DEP_4)
	;; [unrolled: 15-line block ×3, first 2 shown]
	v_add_f64_e32 v[8:9], v[155:156], v[8:9]
	v_mul_f64_e32 v[155:156], s[20:21], v[127:128]
	v_add_f64_e32 v[16:17], v[20:21], v[16:17]
	s_delay_alu instid0(VALU_DEP_2) | instskip(SKIP_2) | instid1(VALU_DEP_3)
	v_fma_f64 v[20:21], v[109:110], s[22:23], -v[155:156]
	v_fma_f64 v[157:158], v[109:110], s[22:23], v[155:156]
	v_mul_f64_e32 v[155:156], s[52:53], v[123:124]
	v_add_f64_e32 v[20:21], v[20:21], v[18:19]
	v_fma_f64 v[18:19], v[111:112], s[34:35], v[159:160]
	s_delay_alu instid0(VALU_DEP_4) | instskip(SKIP_2) | instid1(VALU_DEP_4)
	v_add_f64_e32 v[157:158], v[157:158], v[10:11]
	v_fma_f64 v[10:11], v[111:112], s[44:45], v[159:160]
	v_mul_f64_e32 v[159:160], s[12:13], v[127:128]
	v_add_f64_e32 v[18:19], v[18:19], v[16:17]
	v_add_f64_e32 v[16:17], v[22:23], v[20:21]
	v_fma_f64 v[20:21], v[81:82], s[34:35], v[28:29]
	v_fma_f64 v[22:23], v[83:84], s[30:31], v[30:31]
	v_add_f64_e32 v[10:11], v[10:11], v[8:9]
	v_fma_f64 v[8:9], v[113:114], s[30:31], v[161:162]
	v_mul_f64_e32 v[161:162], s[28:29], v[135:136]
	v_fma_f64 v[28:29], v[81:82], s[44:45], v[28:29]
	v_fma_f64 v[30:31], v[83:84], s[30:31], -v[30:31]
	v_add_f64_e32 v[20:21], v[20:21], v[32:33]
	v_mul_f64_e32 v[32:33], s[16:17], v[117:118]
	v_add_f64_e32 v[22:23], v[22:23], v[60:61]
	v_mul_f64_e32 v[60:61], s[36:37], v[119:120]
	;; [unrolled: 2-line block ×3, first 2 shown]
	v_add_f64_e32 v[28:29], v[28:29], v[72:73]
	v_add_f64_e32 v[30:31], v[30:31], v[46:47]
	v_fma_f64 v[46:47], v[113:114], s[24:25], v[189:190]
	v_mul_f64_e32 v[72:73], s[22:23], v[91:92]
	v_fma_f64 v[24:25], v[85:86], s[10:11], v[32:33]
	v_fma_f64 v[32:33], v[85:86], s[50:51], v[32:33]
	s_delay_alu instid0(VALU_DEP_2) | instskip(SKIP_1) | instid1(VALU_DEP_3)
	v_add_f64_e32 v[20:21], v[24:25], v[20:21]
	v_fma_f64 v[24:25], v[93:94], s[16:17], v[44:45]
	v_add_f64_e32 v[28:29], v[32:33], v[28:29]
	v_fma_f64 v[32:33], v[93:94], s[16:17], -v[44:45]
	v_fma_f64 v[44:45], v[113:114], s[28:29], -v[163:164]
	s_delay_alu instid0(VALU_DEP_4) | instskip(SKIP_1) | instid1(VALU_DEP_4)
	v_add_f64_e32 v[22:23], v[24:25], v[22:23]
	v_fma_f64 v[24:25], v[95:96], s[42:43], v[54:55]
	v_add_f64_e32 v[30:31], v[32:33], v[30:31]
	v_fma_f64 v[32:33], v[95:96], s[18:19], v[54:55]
	v_mul_f64_e32 v[54:55], s[12:13], v[87:88]
	s_delay_alu instid0(VALU_DEP_4) | instskip(SKIP_1) | instid1(VALU_DEP_4)
	v_add_f64_e32 v[20:21], v[24:25], v[20:21]
	v_fma_f64 v[24:25], v[97:98], s[14:15], v[56:57]
	v_add_f64_e32 v[28:29], v[32:33], v[28:29]
	v_fma_f64 v[32:33], v[97:98], s[14:15], -v[56:57]
	v_mul_f64_e32 v[56:57], s[24:25], v[91:92]
	s_delay_alu instid0(VALU_DEP_4) | instskip(SKIP_1) | instid1(VALU_DEP_4)
	v_add_f64_e32 v[22:23], v[24:25], v[22:23]
	v_fma_f64 v[24:25], v[99:100], s[56:57], v[58:59]
	v_add_f64_e32 v[30:31], v[32:33], v[30:31]
	v_fma_f64 v[32:33], v[99:100], s[36:37], v[58:59]
	v_mul_f64_e32 v[58:59], s[38:39], v[87:88]
	s_delay_alu instid0(VALU_DEP_4) | instskip(SKIP_1) | instid1(VALU_DEP_4)
	v_add_f64_e32 v[20:21], v[24:25], v[20:21]
	v_fma_f64 v[24:25], v[101:102], s[40:41], v[60:61]
	v_add_f64_e32 v[28:29], v[32:33], v[28:29]
	v_fma_f64 v[32:33], v[101:102], s[40:41], -v[60:61]
	v_mul_f64_e32 v[60:61], s[40:41], v[91:92]
	;; [unrolled: 12-line block ×4, first 2 shown]
	s_delay_alu instid0(VALU_DEP_4) | instskip(SKIP_1) | instid1(VALU_DEP_4)
	v_add_f64_e32 v[24:25], v[24:25], v[22:23]
	v_fma_f64 v[22:23], v[111:112], s[48:49], v[161:162]
	v_add_f64_e32 v[32:33], v[32:33], v[30:31]
	v_fma_f64 v[30:31], v[111:112], s[26:27], v[161:162]
	v_mul_f64_e32 v[161:162], s[30:31], v[125:126]
	s_delay_alu instid0(VALU_DEP_4) | instskip(SKIP_1) | instid1(VALU_DEP_4)
	v_add_f64_e32 v[22:23], v[22:23], v[20:21]
	v_fma_f64 v[20:21], v[113:114], s[28:29], v[163:164]
	v_add_f64_e32 v[30:31], v[30:31], v[28:29]
	v_add_f64_e32 v[28:29], v[44:45], v[32:33]
	v_fma_f64 v[32:33], v[81:82], s[18:19], v[165:166]
	v_mul_f64_e32 v[163:164], s[34:35], v[119:120]
	v_add_f64_e32 v[20:21], v[20:21], v[24:25]
	v_fma_f64 v[24:25], v[81:82], s[42:43], v[165:166]
	v_mul_f64_e32 v[165:166], s[24:25], v[129:130]
	v_add_f64_e32 v[32:33], v[32:33], v[34:35]
	s_delay_alu instid0(VALU_DEP_3) | instskip(SKIP_1) | instid1(VALU_DEP_1)
	v_add_f64_e32 v[24:25], v[24:25], v[74:75]
	v_mul_f64_e32 v[74:75], s[42:43], v[87:88]
	v_fma_f64 v[26:27], v[83:84], s[14:15], -v[74:75]
	v_fma_f64 v[34:35], v[83:84], s[14:15], v[74:75]
	v_mul_f64_e32 v[74:75], s[52:53], v[87:88]
	s_delay_alu instid0(VALU_DEP_3) | instskip(SKIP_1) | instid1(VALU_DEP_4)
	v_add_f64_e32 v[26:27], v[26:27], v[48:49]
	v_mul_f64_e32 v[48:49], s[22:23], v[117:118]
	v_add_f64_e32 v[34:35], v[34:35], v[62:63]
	v_mul_f64_e32 v[62:63], s[56:57], v[87:88]
	v_fma_f64 v[87:88], v[83:84], s[4:5], -v[54:55]
	v_fma_f64 v[54:55], v[83:84], s[4:5], v[54:55]
	v_fma_f64 v[167:168], v[85:86], s[20:21], v[48:49]
	;; [unrolled: 1-line block ×3, first 2 shown]
	s_delay_alu instid0(VALU_DEP_4)
	v_add_f64_e32 v[50:51], v[87:88], v[50:51]
	v_mul_f64_e32 v[87:88], s[30:31], v[117:118]
	v_add_f64_e32 v[54:55], v[54:55], v[64:65]
	v_add_f64_e32 v[24:25], v[167:168], v[24:25]
	v_mul_f64_e32 v[167:168], s[20:21], v[89:90]
	v_add_f64_e32 v[32:33], v[44:45], v[32:33]
	v_fma_f64 v[64:65], v[85:86], s[34:35], v[87:88]
	s_delay_alu instid0(VALU_DEP_3) | instskip(SKIP_2) | instid1(VALU_DEP_3)
	v_fma_f64 v[169:170], v[93:94], s[22:23], -v[167:168]
	v_fma_f64 v[44:45], v[93:94], s[22:23], v[167:168]
	v_mul_f64_e32 v[167:168], s[38:39], v[123:124]
	v_add_f64_e32 v[26:27], v[169:170], v[26:27]
	v_mul_f64_e32 v[169:170], s[28:29], v[121:122]
	s_delay_alu instid0(VALU_DEP_4) | instskip(NEXT) | instid1(VALU_DEP_2)
	v_add_f64_e32 v[34:35], v[44:45], v[34:35]
	v_fma_f64 v[171:172], v[95:96], s[48:49], v[169:170]
	v_fma_f64 v[44:45], v[95:96], s[26:27], v[169:170]
	v_mul_f64_e32 v[169:170], s[14:15], v[133:134]
	s_delay_alu instid0(VALU_DEP_3) | instskip(SKIP_1) | instid1(VALU_DEP_4)
	v_add_f64_e32 v[24:25], v[171:172], v[24:25]
	v_mul_f64_e32 v[171:172], s[48:49], v[115:116]
	v_add_f64_e32 v[32:33], v[44:45], v[32:33]
	s_delay_alu instid0(VALU_DEP_2) | instskip(SKIP_2) | instid1(VALU_DEP_3)
	v_fma_f64 v[173:174], v[97:98], s[28:29], -v[171:172]
	v_fma_f64 v[44:45], v[97:98], s[28:29], v[171:172]
	v_mul_f64_e32 v[171:172], s[18:19], v[127:128]
	v_add_f64_e32 v[26:27], v[173:174], v[26:27]
	v_mul_f64_e32 v[173:174], s[4:5], v[125:126]
	s_delay_alu instid0(VALU_DEP_4) | instskip(NEXT) | instid1(VALU_DEP_2)
	v_add_f64_e32 v[34:35], v[44:45], v[34:35]
	v_fma_f64 v[175:176], v[99:100], s[12:13], v[173:174]
	v_fma_f64 v[44:45], v[99:100], s[54:55], v[173:174]
	v_mul_f64_e32 v[173:174], s[4:5], v[135:136]
	s_delay_alu instid0(VALU_DEP_3) | instskip(SKIP_1) | instid1(VALU_DEP_4)
	v_add_f64_e32 v[24:25], v[175:176], v[24:25]
	v_mul_f64_e32 v[175:176], s[12:13], v[119:120]
	v_add_f64_e32 v[32:33], v[44:45], v[32:33]
	s_delay_alu instid0(VALU_DEP_2) | instskip(SKIP_3) | instid1(VALU_DEP_4)
	v_fma_f64 v[177:178], v[101:102], s[4:5], -v[175:176]
	v_fma_f64 v[44:45], v[101:102], s[4:5], v[175:176]
	v_mul_f64_e32 v[175:176], s[12:13], v[131:132]
	v_mul_f64_e32 v[131:132], s[20:21], v[131:132]
	v_add_f64_e32 v[26:27], v[177:178], v[26:27]
	v_mul_f64_e32 v[177:178], s[40:41], v[129:130]
	v_add_f64_e32 v[34:35], v[44:45], v[34:35]
	s_delay_alu instid0(VALU_DEP_2) | instskip(SKIP_2) | instid1(VALU_DEP_3)
	v_fma_f64 v[179:180], v[103:104], s[36:37], v[177:178]
	v_fma_f64 v[44:45], v[103:104], s[56:57], v[177:178]
	v_mul_f64_e32 v[177:178], s[24:25], v[117:118]
	v_add_f64_e32 v[24:25], v[179:180], v[24:25]
	v_mul_f64_e32 v[179:180], s[36:37], v[123:124]
	s_delay_alu instid0(VALU_DEP_4) | instskip(SKIP_1) | instid1(VALU_DEP_3)
	v_add_f64_e32 v[32:33], v[44:45], v[32:33]
	v_mul_f64_e32 v[123:124], s[18:19], v[123:124]
	v_fma_f64 v[181:182], v[105:106], s[40:41], -v[179:180]
	v_fma_f64 v[44:45], v[105:106], s[40:41], v[179:180]
	v_mul_f64_e32 v[179:180], s[38:39], v[89:90]
	v_mul_f64_e32 v[89:90], s[44:45], v[89:90]
	s_delay_alu instid0(VALU_DEP_4) | instskip(SKIP_2) | instid1(VALU_DEP_2)
	v_add_f64_e32 v[26:27], v[181:182], v[26:27]
	v_mul_f64_e32 v[181:182], s[16:17], v[133:134]
	v_add_f64_e32 v[34:35], v[44:45], v[34:35]
	v_fma_f64 v[183:184], v[107:108], s[50:51], v[181:182]
	v_fma_f64 v[44:45], v[107:108], s[10:11], v[181:182]
	v_mul_f64_e32 v[181:182], s[4:5], v[121:122]
	s_delay_alu instid0(VALU_DEP_3) | instskip(SKIP_1) | instid1(VALU_DEP_4)
	v_add_f64_e32 v[24:25], v[183:184], v[24:25]
	v_mul_f64_e32 v[183:184], s[50:51], v[127:128]
	v_add_f64_e32 v[32:33], v[44:45], v[32:33]
	v_mul_f64_e32 v[127:128], s[46:47], v[127:128]
	s_delay_alu instid0(VALU_DEP_3) | instskip(SKIP_3) | instid1(VALU_DEP_4)
	v_fma_f64 v[44:45], v[109:110], s[16:17], v[183:184]
	v_fma_f64 v[185:186], v[109:110], s[16:17], -v[183:184]
	v_mul_f64_e32 v[183:184], s[12:13], v[115:116]
	v_mul_f64_e32 v[115:116], s[10:11], v[115:116]
	v_add_f64_e32 v[44:45], v[44:45], v[34:35]
	v_fma_f64 v[34:35], v[111:112], s[46:47], v[187:188]
	v_add_f64_e32 v[185:186], v[185:186], v[26:27]
	v_fma_f64 v[26:27], v[111:112], s[38:39], v[187:188]
	v_mul_f64_e32 v[187:188], s[42:43], v[119:120]
	v_mul_f64_e32 v[119:120], s[48:49], v[119:120]
	v_add_f64_e32 v[34:35], v[34:35], v[32:33]
	v_add_f64_e32 v[32:33], v[46:47], v[44:45]
	v_fma_f64 v[44:45], v[81:82], s[52:53], v[72:73]
	v_add_f64_e32 v[26:27], v[26:27], v[24:25]
	v_fma_f64 v[24:25], v[113:114], s[24:25], -v[189:190]
	v_mul_f64_e32 v[189:190], s[30:31], v[129:130]
	v_fma_f64 v[46:47], v[83:84], s[24:25], -v[58:59]
	v_fma_f64 v[58:59], v[83:84], s[24:25], v[58:59]
	v_add_f64_e32 v[36:37], v[44:45], v[36:37]
	v_fma_f64 v[44:45], v[83:84], s[22:23], -v[74:75]
	v_add_f64_e32 v[24:25], v[24:25], v[185:186]
	v_mul_f64_e32 v[185:186], s[14:15], v[125:126]
	v_add_f64_e32 v[46:47], v[46:47], v[52:53]
	v_mul_f64_e32 v[52:53], s[4:5], v[91:92]
	v_fma_f64 v[91:92], v[85:86], s[44:45], v[87:88]
	v_fma_f64 v[87:88], v[113:114], s[22:23], v[131:132]
	v_add_f64_e32 v[58:59], v[58:59], v[66:67]
	v_fma_f64 v[66:67], v[113:114], s[14:15], v[221:222]
	v_add_f64_e32 v[38:39], v[44:45], v[38:39]
	v_fma_f64 v[44:45], v[85:86], s[48:49], v[153:154]
	s_delay_alu instid0(VALU_DEP_1) | instskip(SKIP_1) | instid1(VALU_DEP_1)
	v_add_f64_e32 v[36:37], v[44:45], v[36:37]
	v_fma_f64 v[44:45], v[93:94], s[28:29], -v[155:156]
	v_add_f64_e32 v[38:39], v[44:45], v[38:39]
	v_fma_f64 v[44:45], v[95:96], s[56:57], v[157:158]
	s_delay_alu instid0(VALU_DEP_1) | instskip(SKIP_1) | instid1(VALU_DEP_1)
	v_add_f64_e32 v[36:37], v[44:45], v[36:37]
	v_fma_f64 v[44:45], v[97:98], s[40:41], -v[159:160]
	;; [unrolled: 5-line block ×6, first 2 shown]
	v_add_f64_e32 v[36:37], v[36:37], v[44:45]
	v_fma_f64 v[44:45], v[81:82], s[56:57], v[60:61]
	v_fma_f64 v[60:61], v[81:82], s[36:37], v[60:61]
	s_delay_alu instid0(VALU_DEP_2) | instskip(SKIP_1) | instid1(VALU_DEP_3)
	v_add_f64_e32 v[40:41], v[44:45], v[40:41]
	v_fma_f64 v[44:45], v[83:84], s[40:41], -v[62:63]
	v_add_f64_e32 v[60:61], v[60:61], v[149:150]
	v_fma_f64 v[62:63], v[83:84], s[40:41], v[62:63]
	s_delay_alu instid0(VALU_DEP_3) | instskip(SKIP_1) | instid1(VALU_DEP_3)
	v_add_f64_e32 v[42:43], v[44:45], v[42:43]
	v_fma_f64 v[44:45], v[85:86], s[38:39], v[177:178]
	v_add_f64_e32 v[62:63], v[62:63], v[68:69]
	v_fma_f64 v[68:69], v[85:86], s[26:27], v[153:154]
	s_delay_alu instid0(VALU_DEP_3) | instskip(SKIP_1) | instid1(VALU_DEP_1)
	v_add_f64_e32 v[40:41], v[44:45], v[40:41]
	v_fma_f64 v[44:45], v[93:94], s[24:25], -v[179:180]
	v_add_f64_e32 v[42:43], v[44:45], v[42:43]
	v_fma_f64 v[44:45], v[95:96], s[12:13], v[181:182]
	s_delay_alu instid0(VALU_DEP_1) | instskip(SKIP_1) | instid1(VALU_DEP_1)
	v_add_f64_e32 v[40:41], v[44:45], v[40:41]
	v_fma_f64 v[44:45], v[97:98], s[4:5], -v[183:184]
	v_add_f64_e32 v[42:43], v[44:45], v[42:43]
	v_fma_f64 v[44:45], v[99:100], s[42:43], v[185:186]
	s_delay_alu instid0(VALU_DEP_1) | instskip(SKIP_1) | instid1(VALU_DEP_1)
	;; [unrolled: 5-line block ×5, first 2 shown]
	v_add_f64_e32 v[42:43], v[42:43], v[40:41]
	v_fma_f64 v[40:41], v[113:114], s[16:17], -v[199:200]
	v_add_f64_e32 v[40:41], v[40:41], v[44:45]
	v_fma_f64 v[44:45], v[81:82], s[38:39], v[56:57]
	v_fma_f64 v[56:57], v[81:82], s[46:47], v[56:57]
	s_delay_alu instid0(VALU_DEP_2) | instskip(SKIP_1) | instid1(VALU_DEP_3)
	v_add_f64_e32 v[44:45], v[44:45], v[143:144]
	v_mul_f64_e32 v[143:144], s[4:5], v[117:118]
	v_add_f64_e32 v[56:57], v[56:57], v[141:142]
	s_delay_alu instid0(VALU_DEP_2) | instskip(NEXT) | instid1(VALU_DEP_1)
	v_fma_f64 v[48:49], v[85:86], s[54:55], v[143:144]
	v_add_f64_e32 v[44:45], v[48:49], v[44:45]
	v_fma_f64 v[48:49], v[93:94], s[4:5], -v[201:202]
	s_delay_alu instid0(VALU_DEP_1) | instskip(SKIP_1) | instid1(VALU_DEP_1)
	v_add_f64_e32 v[46:47], v[48:49], v[46:47]
	v_fma_f64 v[48:49], v[95:96], s[44:45], v[203:204]
	v_add_f64_e32 v[44:45], v[48:49], v[44:45]
	v_fma_f64 v[48:49], v[97:98], s[30:31], -v[205:206]
	s_delay_alu instid0(VALU_DEP_1) | instskip(SKIP_1) | instid1(VALU_DEP_1)
	v_add_f64_e32 v[46:47], v[48:49], v[46:47]
	;; [unrolled: 5-line block ×5, first 2 shown]
	v_fma_f64 v[46:47], v[111:112], s[18:19], v[219:220]
	v_add_f64_e32 v[46:47], v[46:47], v[44:45]
	v_fma_f64 v[44:45], v[113:114], s[14:15], -v[221:222]
	s_delay_alu instid0(VALU_DEP_1) | instskip(SKIP_2) | instid1(VALU_DEP_2)
	v_add_f64_e32 v[44:45], v[44:45], v[48:49]
	v_fma_f64 v[48:49], v[81:82], s[12:13], v[52:53]
	v_fma_f64 v[52:53], v[81:82], s[54:55], v[52:53]
	v_add_f64_e32 v[48:49], v[48:49], v[139:140]
	s_delay_alu instid0(VALU_DEP_2) | instskip(NEXT) | instid1(VALU_DEP_2)
	v_add_f64_e32 v[52:53], v[52:53], v[137:138]
	v_add_f64_e32 v[48:49], v[91:92], v[48:49]
	v_fma_f64 v[91:92], v[93:94], s[30:31], -v[89:90]
	s_delay_alu instid0(VALU_DEP_3) | instskip(SKIP_1) | instid1(VALU_DEP_3)
	v_add_f64_e32 v[52:53], v[64:65], v[52:53]
	v_fma_f64 v[64:65], v[93:94], s[30:31], v[89:90]
	v_add_f64_e32 v[50:51], v[91:92], v[50:51]
	v_mul_f64_e32 v[91:92], s[16:17], v[121:122]
	s_delay_alu instid0(VALU_DEP_3) | instskip(NEXT) | instid1(VALU_DEP_2)
	v_add_f64_e32 v[54:55], v[64:65], v[54:55]
	v_fma_f64 v[117:118], v[95:96], s[10:11], v[91:92]
	v_fma_f64 v[64:65], v[95:96], s[50:51], v[91:92]
	s_delay_alu instid0(VALU_DEP_2) | instskip(SKIP_1) | instid1(VALU_DEP_3)
	v_add_f64_e32 v[48:49], v[117:118], v[48:49]
	v_fma_f64 v[117:118], v[97:98], s[16:17], -v[115:116]
	v_add_f64_e32 v[52:53], v[64:65], v[52:53]
	v_fma_f64 v[64:65], v[97:98], s[16:17], v[115:116]
	s_delay_alu instid0(VALU_DEP_3) | instskip(SKIP_1) | instid1(VALU_DEP_3)
	v_add_f64_e32 v[50:51], v[117:118], v[50:51]
	v_mul_f64_e32 v[117:118], s[28:29], v[125:126]
	v_add_f64_e32 v[54:55], v[64:65], v[54:55]
	s_delay_alu instid0(VALU_DEP_2) | instskip(SKIP_1) | instid1(VALU_DEP_2)
	v_fma_f64 v[121:122], v[99:100], s[48:49], v[117:118]
	v_fma_f64 v[64:65], v[99:100], s[26:27], v[117:118]
	v_add_f64_e32 v[48:49], v[121:122], v[48:49]
	v_fma_f64 v[121:122], v[101:102], s[28:29], -v[119:120]
	s_delay_alu instid0(VALU_DEP_3) | instskip(SKIP_1) | instid1(VALU_DEP_3)
	v_add_f64_e32 v[52:53], v[64:65], v[52:53]
	v_fma_f64 v[64:65], v[101:102], s[28:29], v[119:120]
	v_add_f64_e32 v[50:51], v[121:122], v[50:51]
	v_mul_f64_e32 v[121:122], s[14:15], v[129:130]
	s_delay_alu instid0(VALU_DEP_3) | instskip(NEXT) | instid1(VALU_DEP_2)
	v_add_f64_e32 v[54:55], v[64:65], v[54:55]
	v_fma_f64 v[125:126], v[103:104], s[18:19], v[121:122]
	v_fma_f64 v[64:65], v[103:104], s[42:43], v[121:122]
	s_delay_alu instid0(VALU_DEP_2) | instskip(SKIP_1) | instid1(VALU_DEP_3)
	v_add_f64_e32 v[48:49], v[125:126], v[48:49]
	v_fma_f64 v[125:126], v[105:106], s[14:15], -v[123:124]
	v_add_f64_e32 v[52:53], v[64:65], v[52:53]
	v_fma_f64 v[64:65], v[105:106], s[14:15], v[123:124]
	s_delay_alu instid0(VALU_DEP_3) | instskip(SKIP_1) | instid1(VALU_DEP_3)
	v_add_f64_e32 v[50:51], v[125:126], v[50:51]
	v_mul_f64_e32 v[125:126], s[24:25], v[133:134]
	v_add_f64_e32 v[54:55], v[64:65], v[54:55]
	v_mul_f64_e32 v[133:134], s[22:23], v[135:136]
	s_delay_alu instid0(VALU_DEP_3) | instskip(SKIP_1) | instid1(VALU_DEP_2)
	v_fma_f64 v[64:65], v[107:108], s[38:39], v[125:126]
	v_fma_f64 v[129:130], v[107:108], s[46:47], v[125:126]
	v_add_f64_e32 v[52:53], v[64:65], v[52:53]
	v_fma_f64 v[64:65], v[109:110], s[24:25], v[127:128]
	s_delay_alu instid0(VALU_DEP_3) | instskip(SKIP_1) | instid1(VALU_DEP_3)
	v_add_f64_e32 v[48:49], v[129:130], v[48:49]
	v_fma_f64 v[129:130], v[109:110], s[24:25], -v[127:128]
	v_add_f64_e32 v[64:65], v[64:65], v[54:55]
	v_fma_f64 v[54:55], v[111:112], s[52:53], v[133:134]
	s_delay_alu instid0(VALU_DEP_3) | instskip(SKIP_1) | instid1(VALU_DEP_3)
	v_add_f64_e32 v[129:130], v[129:130], v[50:51]
	v_fma_f64 v[50:51], v[111:112], s[20:21], v[133:134]
	v_add_f64_e32 v[54:55], v[54:55], v[52:53]
	v_add_f64_e32 v[52:53], v[87:88], v[64:65]
	v_fma_f64 v[64:65], v[85:86], s[12:13], v[143:144]
	s_delay_alu instid0(VALU_DEP_4) | instskip(SKIP_1) | instid1(VALU_DEP_3)
	v_add_f64_e32 v[50:51], v[50:51], v[48:49]
	v_fma_f64 v[48:49], v[113:114], s[22:23], -v[131:132]
	v_add_f64_e32 v[56:57], v[64:65], v[56:57]
	v_fma_f64 v[64:65], v[93:94], s[4:5], v[201:202]
	s_delay_alu instid0(VALU_DEP_3) | instskip(NEXT) | instid1(VALU_DEP_2)
	v_add_f64_e32 v[48:49], v[48:49], v[129:130]
	v_add_f64_e32 v[58:59], v[64:65], v[58:59]
	v_fma_f64 v[64:65], v[95:96], s[34:35], v[203:204]
	s_delay_alu instid0(VALU_DEP_1) | instskip(SKIP_1) | instid1(VALU_DEP_1)
	v_add_f64_e32 v[56:57], v[64:65], v[56:57]
	v_fma_f64 v[64:65], v[97:98], s[30:31], v[205:206]
	v_add_f64_e32 v[58:59], v[64:65], v[58:59]
	v_fma_f64 v[64:65], v[99:100], s[52:53], v[207:208]
	s_delay_alu instid0(VALU_DEP_1) | instskip(SKIP_1) | instid1(VALU_DEP_1)
	v_add_f64_e32 v[56:57], v[64:65], v[56:57]
	v_fma_f64 v[64:65], v[101:102], s[22:23], v[209:210]
	;; [unrolled: 5-line block ×4, first 2 shown]
	v_add_f64_e32 v[64:65], v[64:65], v[58:59]
	v_fma_f64 v[58:59], v[111:112], s[42:43], v[219:220]
	s_delay_alu instid0(VALU_DEP_1) | instskip(NEXT) | instid1(VALU_DEP_3)
	v_add_f64_e32 v[58:59], v[58:59], v[56:57]
	v_add_f64_e32 v[56:57], v[66:67], v[64:65]
	v_fma_f64 v[64:65], v[85:86], s[46:47], v[177:178]
	v_fma_f64 v[66:67], v[113:114], s[16:17], v[199:200]
	s_delay_alu instid0(VALU_DEP_2) | instskip(SKIP_1) | instid1(VALU_DEP_1)
	v_add_f64_e32 v[60:61], v[64:65], v[60:61]
	v_fma_f64 v[64:65], v[93:94], s[24:25], v[179:180]
	v_add_f64_e32 v[62:63], v[64:65], v[62:63]
	v_fma_f64 v[64:65], v[95:96], s[54:55], v[181:182]
	s_delay_alu instid0(VALU_DEP_1) | instskip(SKIP_1) | instid1(VALU_DEP_1)
	v_add_f64_e32 v[60:61], v[64:65], v[60:61]
	v_fma_f64 v[64:65], v[97:98], s[4:5], v[183:184]
	v_add_f64_e32 v[62:63], v[64:65], v[62:63]
	v_fma_f64 v[64:65], v[99:100], s[18:19], v[185:186]
	s_delay_alu instid0(VALU_DEP_1) | instskip(SKIP_1) | instid1(VALU_DEP_1)
	v_add_f64_e32 v[60:61], v[64:65], v[60:61]
	v_fma_f64 v[64:65], v[101:102], s[14:15], v[187:188]
	v_add_f64_e32 v[62:63], v[64:65], v[62:63]
	v_fma_f64 v[64:65], v[103:104], s[34:35], v[189:190]
	s_delay_alu instid0(VALU_DEP_1) | instskip(SKIP_1) | instid1(VALU_DEP_1)
	v_add_f64_e32 v[60:61], v[64:65], v[60:61]
	v_fma_f64 v[64:65], v[105:106], s[30:31], v[191:192]
	v_add_f64_e32 v[62:63], v[64:65], v[62:63]
	v_fma_f64 v[64:65], v[107:108], s[48:49], v[193:194]
	s_delay_alu instid0(VALU_DEP_1) | instskip(SKIP_1) | instid1(VALU_DEP_1)
	v_add_f64_e32 v[60:61], v[64:65], v[60:61]
	v_fma_f64 v[64:65], v[109:110], s[28:29], v[195:196]
	v_add_f64_e32 v[64:65], v[64:65], v[62:63]
	v_fma_f64 v[62:63], v[111:112], s[50:51], v[197:198]
	s_delay_alu instid0(VALU_DEP_1) | instskip(NEXT) | instid1(VALU_DEP_3)
	v_add_f64_e32 v[62:63], v[62:63], v[60:61]
	v_add_f64_e32 v[60:61], v[66:67], v[64:65]
	v_fma_f64 v[64:65], v[81:82], s[20:21], v[72:73]
	v_fma_f64 v[66:67], v[83:84], s[22:23], v[74:75]
	;; [unrolled: 1-line block ×3, first 2 shown]
	s_delay_alu instid0(VALU_DEP_3) | instskip(NEXT) | instid1(VALU_DEP_3)
	v_add_f64_e32 v[64:65], v[64:65], v[151:152]
	v_add_f64_e32 v[66:67], v[66:67], v[70:71]
	v_fma_f64 v[70:71], v[95:96], s[36:37], v[157:158]
	s_delay_alu instid0(VALU_DEP_3) | instskip(SKIP_1) | instid1(VALU_DEP_4)
	v_add_f64_e32 v[64:65], v[68:69], v[64:65]
	v_fma_f64 v[68:69], v[97:98], s[40:41], v[159:160]
	v_add_f64_e32 v[66:67], v[72:73], v[66:67]
	v_fma_f64 v[72:73], v[99:100], s[44:45], v[161:162]
	s_delay_alu instid0(VALU_DEP_4) | instskip(SKIP_1) | instid1(VALU_DEP_4)
	v_add_f64_e32 v[64:65], v[70:71], v[64:65]
	v_fma_f64 v[70:71], v[101:102], s[30:31], v[163:164]
	v_add_f64_e32 v[66:67], v[68:69], v[66:67]
	v_fma_f64 v[68:69], v[103:104], s[46:47], v[165:166]
	s_delay_alu instid0(VALU_DEP_4) | instskip(SKIP_1) | instid1(VALU_DEP_4)
	;; [unrolled: 5-line block ×4, first 2 shown]
	v_add_f64_e32 v[64:65], v[70:71], v[64:65]
	v_fma_f64 v[70:71], v[113:114], s[4:5], v[175:176]
	v_add_f64_e32 v[68:69], v[68:69], v[66:67]
	s_delay_alu instid0(VALU_DEP_3) | instskip(NEXT) | instid1(VALU_DEP_2)
	v_add_f64_e32 v[66:67], v[72:73], v[64:65]
	v_add_f64_e32 v[64:65], v[70:71], v[68:69]
	v_mul_u32_u24_e32 v68, 0x110, v80
	s_delay_alu instid0(VALU_DEP_1)
	v_add3_u32 v68, 0, v68, v148
	ds_store_b128 v68, v[12:15]
	ds_store_b128 v68, v[36:39] offset:16
	ds_store_b128 v68, v[40:43] offset:32
	;; [unrolled: 1-line block ×16, first 2 shown]
.LBB0_22:
	s_or_b32 exec_lo, exec_lo, s33
	global_wb scope:SCOPE_SE
	s_wait_dscnt 0x0
	s_barrier_signal -1
	s_barrier_wait -1
	global_inv scope:SCOPE_SE
	ds_load_b128 v[12:15], v146
	ds_load_b128 v[16:19], v147 offset:544
	ds_load_b128 v[28:31], v147 offset:2448
	;; [unrolled: 1-line block ×7, first 2 shown]
	s_and_saveexec_b32 s1, s0
	s_cbranch_execz .LBB0_24
; %bb.23:
	ds_load_b128 v[0:3], v147 offset:2176
	ds_load_b128 v[4:7], v147 offset:4624
.LBB0_24:
	s_wait_alu 0xfffe
	s_or_b32 exec_lo, exec_lo, s1
	v_add_nc_u16 v43, v80, 0x44
	v_add_nc_u16 v42, v80, 34
	v_add_nc_u16 v44, v80, 0x66
	s_delay_alu instid0(VALU_DEP_3) | instskip(NEXT) | instid1(VALU_DEP_3)
	v_and_b32_e32 v41, 0xff, v43
	v_and_b32_e32 v40, 0xff, v42
	s_delay_alu instid0(VALU_DEP_3) | instskip(NEXT) | instid1(VALU_DEP_3)
	v_and_b32_e32 v45, 0xff, v44
	v_mul_lo_u16 v41, 0xf1, v41
	s_delay_alu instid0(VALU_DEP_2) | instskip(NEXT) | instid1(VALU_DEP_2)
	v_mul_lo_u16 v45, 0xf1, v45
	v_lshrrev_b16 v67, 12, v41
	v_mov_b32_e32 v41, 0
	v_mul_lo_u16 v40, 0xf1, v40
	s_delay_alu instid0(VALU_DEP_4) | instskip(NEXT) | instid1(VALU_DEP_4)
	v_lshrrev_b16 v68, 12, v45
	v_mul_lo_u16 v46, v67, 17
	s_delay_alu instid0(VALU_DEP_3) | instskip(SKIP_1) | instid1(VALU_DEP_4)
	v_lshrrev_b16 v66, 12, v40
	v_subrev_nc_u32_e32 v40, 17, v80
	v_mul_lo_u16 v47, v68, 17
	s_delay_alu instid0(VALU_DEP_4) | instskip(NEXT) | instid1(VALU_DEP_4)
	v_sub_nc_u16 v46, v43, v46
	v_mul_lo_u16 v45, v66, 17
	s_delay_alu instid0(VALU_DEP_4) | instskip(NEXT) | instid1(VALU_DEP_4)
	v_cndmask_b32_e64 v40, v40, v80, s0
	v_sub_nc_u16 v44, v44, v47
	s_delay_alu instid0(VALU_DEP_4) | instskip(NEXT) | instid1(VALU_DEP_4)
	v_and_b32_e32 v46, 0xff, v46
	v_sub_nc_u16 v45, v42, v45
	s_delay_alu instid0(VALU_DEP_4) | instskip(NEXT) | instid1(VALU_DEP_4)
	v_lshlrev_b64_e32 v[42:43], 4, v[40:41]
	v_and_b32_e32 v47, 0xff, v44
	s_delay_alu instid0(VALU_DEP_4)
	v_lshlrev_b32_e32 v70, 4, v46
	v_lshlrev_b32_e32 v40, 4, v40
	v_and_b32_e32 v45, 0xff, v45
	v_add_co_u32 v42, s1, s8, v42
	s_wait_alu 0xf1ff
	v_add_co_ci_u32_e64 v43, s1, s9, v43, s1
	s_delay_alu instid0(VALU_DEP_3)
	v_lshlrev_b32_e32 v69, 4, v45
	v_lshlrev_b32_e32 v71, 4, v47
	v_cmp_lt_u32_e64 s1, 16, v80
	s_clause 0x3
	global_load_b128 v[42:45], v[42:43], off
	global_load_b128 v[46:49], v69, s[8:9]
	global_load_b128 v[50:53], v70, s[8:9]
	;; [unrolled: 1-line block ×3, first 2 shown]
	global_wb scope:SCOPE_SE
	s_wait_loadcnt_dscnt 0x0
	s_barrier_signal -1
	s_barrier_wait -1
	global_inv scope:SCOPE_SE
	v_mul_f64_e32 v[58:59], v[30:31], v[44:45]
	v_mul_f64_e32 v[44:45], v[28:29], v[44:45]
	v_mul_f64_e32 v[60:61], v[26:27], v[48:49]
	v_mul_f64_e32 v[48:49], v[24:25], v[48:49]
	v_mul_f64_e32 v[62:63], v[38:39], v[52:53]
	v_mul_f64_e32 v[52:53], v[36:37], v[52:53]
	v_mul_f64_e32 v[64:65], v[34:35], v[56:57]
	v_mul_f64_e32 v[56:57], v[32:33], v[56:57]
	v_fma_f64 v[28:29], v[28:29], v[42:43], -v[58:59]
	v_fma_f64 v[30:31], v[30:31], v[42:43], v[44:45]
	v_fma_f64 v[42:43], v[24:25], v[46:47], -v[60:61]
	v_fma_f64 v[44:45], v[26:27], v[46:47], v[48:49]
	;; [unrolled: 2-line block ×4, first 2 shown]
	v_add_f64_e64 v[24:25], v[12:13], -v[28:29]
	v_add_f64_e64 v[26:27], v[14:15], -v[30:31]
	;; [unrolled: 1-line block ×8, first 2 shown]
	s_wait_alu 0xf1ff
	v_cndmask_b32_e64 v42, 0, 0x220, s1
	v_and_b32_e32 v43, 0xffff, v66
	v_and_b32_e32 v44, 0xffff, v67
	;; [unrolled: 1-line block ×3, first 2 shown]
	s_delay_alu instid0(VALU_DEP_4) | instskip(NEXT) | instid1(VALU_DEP_1)
	v_add_nc_u32_e32 v42, 0, v42
	v_add3_u32 v40, v42, v40, v148
	v_mad_u32_u24 v42, 0x220, v43, 0
	v_mad_u32_u24 v43, 0x220, v44, 0
	;; [unrolled: 1-line block ×3, first 2 shown]
	s_delay_alu instid0(VALU_DEP_3) | instskip(NEXT) | instid1(VALU_DEP_3)
	v_add3_u32 v42, v42, v69, v148
	v_add3_u32 v43, v43, v70, v148
	s_delay_alu instid0(VALU_DEP_3)
	v_add3_u32 v44, v44, v71, v148
	v_fma_f64 v[12:13], v[12:13], 2.0, -v[24:25]
	v_fma_f64 v[14:15], v[14:15], 2.0, -v[26:27]
	;; [unrolled: 1-line block ×8, first 2 shown]
	ds_store_b128 v40, v[12:15]
	ds_store_b128 v40, v[24:27] offset:272
	ds_store_b128 v42, v[16:19]
	ds_store_b128 v42, v[28:31] offset:272
	ds_store_b128 v43, v[20:23]
	ds_store_b128 v43, v[32:35] offset:272
	ds_store_b128 v44, v[8:11]
	ds_store_b128 v44, v[36:39] offset:272
	s_and_saveexec_b32 s1, s0
	s_cbranch_execz .LBB0_26
; %bb.25:
	v_add_nc_u16 v8, v80, 0x88
	s_delay_alu instid0(VALU_DEP_1) | instskip(NEXT) | instid1(VALU_DEP_1)
	v_and_b32_e32 v9, 0xff, v8
	v_mul_lo_u16 v9, 0xf1, v9
	s_delay_alu instid0(VALU_DEP_1) | instskip(NEXT) | instid1(VALU_DEP_1)
	v_lshrrev_b16 v9, 12, v9
	v_mul_lo_u16 v9, v9, 17
	s_delay_alu instid0(VALU_DEP_1) | instskip(NEXT) | instid1(VALU_DEP_1)
	v_sub_nc_u16 v8, v8, v9
	v_and_b32_e32 v8, 0xff, v8
	s_delay_alu instid0(VALU_DEP_1) | instskip(SKIP_4) | instid1(VALU_DEP_2)
	v_lshlrev_b32_e32 v14, 4, v8
	global_load_b128 v[8:11], v14, s[8:9]
	s_wait_loadcnt 0x0
	v_mul_f64_e32 v[12:13], v[4:5], v[10:11]
	v_mul_f64_e32 v[10:11], v[6:7], v[10:11]
	v_fma_f64 v[6:7], v[6:7], v[8:9], v[12:13]
	s_delay_alu instid0(VALU_DEP_2) | instskip(SKIP_1) | instid1(VALU_DEP_3)
	v_fma_f64 v[4:5], v[4:5], v[8:9], -v[10:11]
	v_add3_u32 v8, 0, v14, v148
	v_add_f64_e64 v[6:7], v[2:3], -v[6:7]
	s_delay_alu instid0(VALU_DEP_3) | instskip(NEXT) | instid1(VALU_DEP_2)
	v_add_f64_e64 v[4:5], v[0:1], -v[4:5]
	v_fma_f64 v[2:3], v[2:3], 2.0, -v[6:7]
	s_delay_alu instid0(VALU_DEP_2)
	v_fma_f64 v[0:1], v[0:1], 2.0, -v[4:5]
	ds_store_b128 v8, v[0:3] offset:4352
	ds_store_b128 v8, v[4:7] offset:4624
.LBB0_26:
	s_wait_alu 0xfffe
	s_or_b32 exec_lo, exec_lo, s1
	v_lshlrev_b32_e32 v40, 3, v80
	global_wb scope:SCOPE_SE
	s_wait_dscnt 0x0
	s_barrier_signal -1
	s_barrier_wait -1
	global_inv scope:SCOPE_SE
	v_lshlrev_b64_e32 v[0:1], 4, v[40:41]
	s_mov_b32 s5, 0x3fe491b7
	s_mov_b32 s4, 0x523c161c
	;; [unrolled: 1-line block ×4, first 2 shown]
	s_delay_alu instid0(VALU_DEP_1)
	v_add_co_u32 v28, s0, s8, v0
	s_wait_alu 0xf1ff
	v_add_co_ci_u32_e64 v29, s0, s9, v1, s0
	s_mov_b32 s0, 0x8c811c17
	s_mov_b32 s8, 0xa2cf5039
	;; [unrolled: 1-line block ×3, first 2 shown]
	s_clause 0x7
	global_load_b128 v[0:3], v[28:29], off offset:272
	global_load_b128 v[4:7], v[28:29], off offset:384
	global_load_b128 v[8:11], v[28:29], off offset:288
	global_load_b128 v[12:15], v[28:29], off offset:320
	global_load_b128 v[16:19], v[28:29], off offset:336
	global_load_b128 v[20:23], v[28:29], off offset:368
	global_load_b128 v[24:27], v[28:29], off offset:304
	global_load_b128 v[28:31], v[28:29], off offset:352
	ds_load_b128 v[32:35], v147 offset:544
	ds_load_b128 v[36:39], v147 offset:4352
	;; [unrolled: 1-line block ×7, first 2 shown]
	s_mov_b32 s9, 0x3fe8836f
	s_wait_loadcnt_dscnt 0x706
	v_mul_f64_e32 v[60:61], v[34:35], v[2:3]
	v_mul_f64_e32 v[2:3], v[32:33], v[2:3]
	s_wait_loadcnt_dscnt 0x605
	v_mul_f64_e32 v[62:63], v[38:39], v[6:7]
	v_mul_f64_e32 v[6:7], v[36:37], v[6:7]
	;; [unrolled: 3-line block ×3, first 2 shown]
	s_wait_loadcnt_dscnt 0x403
	v_mul_f64_e32 v[66:67], v[46:47], v[14:15]
	s_wait_loadcnt_dscnt 0x302
	v_mul_f64_e32 v[68:69], v[50:51], v[18:19]
	v_mul_f64_e32 v[14:15], v[44:45], v[14:15]
	;; [unrolled: 1-line block ×3, first 2 shown]
	s_wait_loadcnt_dscnt 0x201
	v_mul_f64_e32 v[70:71], v[54:55], v[22:23]
	v_mul_f64_e32 v[22:23], v[52:53], v[22:23]
	v_fma_f64 v[32:33], v[32:33], v[0:1], -v[60:61]
	v_fma_f64 v[34:35], v[34:35], v[0:1], v[2:3]
	v_fma_f64 v[36:37], v[36:37], v[4:5], -v[62:63]
	v_fma_f64 v[4:5], v[38:39], v[4:5], v[6:7]
	;; [unrolled: 2-line block ×3, first 2 shown]
	v_fma_f64 v[10:11], v[44:45], v[12:13], -v[66:67]
	v_fma_f64 v[40:41], v[48:49], v[16:17], -v[68:69]
	v_fma_f64 v[12:13], v[46:47], v[12:13], v[14:15]
	v_fma_f64 v[14:15], v[50:51], v[16:17], v[18:19]
	v_fma_f64 v[16:17], v[52:53], v[20:21], -v[70:71]
	v_fma_f64 v[18:19], v[54:55], v[20:21], v[22:23]
	ds_load_b128 v[0:3], v147 offset:3264
	s_wait_loadcnt_dscnt 0x101
	v_mul_f64_e32 v[20:21], v[58:59], v[26:27]
	v_mul_f64_e32 v[22:23], v[56:57], v[26:27]
	v_add_f64_e64 v[42:43], v[32:33], -v[36:37]
	v_add_f64_e64 v[44:45], v[34:35], -v[4:5]
	v_add_f64_e32 v[34:35], v[34:35], v[4:5]
	ds_load_b128 v[4:7], v146
	s_wait_loadcnt_dscnt 0x1
	v_mul_f64_e32 v[26:27], v[2:3], v[30:31]
	v_mul_f64_e32 v[30:31], v[0:1], v[30:31]
	v_add_f64_e32 v[32:33], v[32:33], v[36:37]
	v_add_f64_e32 v[36:37], v[10:11], v[40:41]
	v_add_f64_e64 v[46:47], v[10:11], -v[40:41]
	v_add_f64_e64 v[48:49], v[12:13], -v[14:15]
	v_add_f64_e32 v[50:51], v[38:39], v[16:17]
	v_add_f64_e32 v[52:53], v[8:9], v[18:19]
	;; [unrolled: 1-line block ×3, first 2 shown]
	v_fma_f64 v[20:21], v[56:57], v[24:25], -v[20:21]
	v_fma_f64 v[22:23], v[58:59], v[24:25], v[22:23]
	v_add_f64_e64 v[16:17], v[38:39], -v[16:17]
	v_add_f64_e64 v[8:9], v[8:9], -v[18:19]
	global_wb scope:SCOPE_SE
	s_wait_dscnt 0x0
	s_barrier_signal -1
	s_barrier_wait -1
	global_inv scope:SCOPE_SE
	s_wait_alu 0xfffe
	v_mul_f64_e32 v[18:19], s[4:5], v[42:43]
	v_mul_f64_e32 v[24:25], s[4:5], v[44:45]
	s_mov_b32 s5, 0xbfe491b7
	v_fma_f64 v[0:1], v[0:1], v[28:29], -v[26:27]
	v_fma_f64 v[2:3], v[2:3], v[28:29], v[30:31]
	v_fma_f64 v[26:27], v[32:33], s[8:9], v[4:5]
	;; [unrolled: 1-line block ×4, first 2 shown]
	s_wait_alu 0xf1ff
	v_mul_f64_e32 v[38:39], s[0:1], v[46:47]
	v_mul_f64_e32 v[56:57], s[0:1], v[48:49]
	v_fma_f64 v[58:59], v[50:51], s[8:9], v[4:5]
	v_fma_f64 v[60:61], v[52:53], s[8:9], v[6:7]
	;; [unrolled: 1-line block ×3, first 2 shown]
	s_wait_alu 0xfffe
	v_mul_f64_e32 v[64:65], s[4:5], v[48:49]
	v_mul_f64_e32 v[66:67], s[4:5], v[46:47]
	v_add_f64_e32 v[72:73], v[50:51], v[32:33]
	v_add_f64_e32 v[74:75], v[52:53], v[34:35]
	s_mov_b32 s8, 0x7e0b738b
	s_mov_b32 s9, 0x3fc63a1a
	v_fma_f64 v[18:19], v[16:17], s[0:1], v[18:19]
	v_add_f64_e32 v[68:69], v[20:21], v[0:1]
	v_add_f64_e32 v[70:71], v[22:23], v[2:3]
	v_add_f64_e64 v[0:1], v[20:21], -v[0:1]
	v_add_f64_e64 v[2:3], v[22:23], -v[2:3]
	v_fma_f64 v[20:21], v[8:9], s[0:1], v[24:25]
	s_wait_alu 0xfffe
	v_fma_f64 v[22:23], v[50:51], s[8:9], v[26:27]
	v_fma_f64 v[24:25], v[52:53], s[8:9], v[28:29]
	;; [unrolled: 1-line block ×3, first 2 shown]
	v_fma_f64 v[28:29], v[16:17], s[4:5], -v[38:39]
	v_fma_f64 v[30:31], v[8:9], s[4:5], -v[56:57]
	v_fma_f64 v[38:39], v[36:37], s[8:9], v[58:59]
	v_fma_f64 v[56:57], v[54:55], s[8:9], v[60:61]
	;; [unrolled: 1-line block ×5, first 2 shown]
	v_add_f64_e32 v[85:86], v[36:37], v[72:73]
	v_add_f64_e32 v[87:88], v[54:55], v[74:75]
	s_mov_b32 s0, 0xe8584cab
	s_mov_b32 s1, 0x3febb67a
	;; [unrolled: 1-line block ×3, first 2 shown]
	s_wait_alu 0xfffe
	s_mov_b32 s4, s0
	v_add_f64_e32 v[64:65], v[46:47], v[42:43]
	v_add_f64_e32 v[66:67], v[48:49], v[44:45]
	s_mov_b32 s8, 0x748a0bf8
	s_mov_b32 s9, 0x3fd5e3a8
	v_add_f64_e32 v[72:73], v[68:69], v[72:73]
	v_add_f64_e32 v[74:75], v[70:71], v[74:75]
	v_fma_f64 v[18:19], v[0:1], s[0:1], v[18:19]
	v_add_f64_e32 v[81:82], v[4:5], v[68:69]
	v_fma_f64 v[20:21], v[2:3], s[0:1], v[20:21]
	v_fma_f64 v[22:23], v[68:69], -0.5, v[22:23]
	v_fma_f64 v[24:25], v[70:71], -0.5, v[24:25]
	;; [unrolled: 1-line block ×3, first 2 shown]
	v_fma_f64 v[28:29], v[0:1], s[0:1], v[28:29]
	v_fma_f64 v[30:31], v[2:3], s[0:1], v[30:31]
	v_fma_f64 v[38:39], v[68:69], -0.5, v[38:39]
	v_fma_f64 v[56:57], v[70:71], -0.5, v[56:57]
	v_add_f64_e32 v[83:84], v[6:7], v[70:71]
	v_fma_f64 v[58:59], v[70:71], -0.5, v[58:59]
	s_wait_alu 0xfffe
	v_fma_f64 v[2:3], v[2:3], s[4:5], v[60:61]
	v_fma_f64 v[0:1], v[0:1], s[4:5], v[62:63]
	v_add_f64_e64 v[60:61], v[64:65], -v[16:17]
	v_add_f64_e64 v[62:63], v[66:67], -v[8:9]
	v_add_f64_e32 v[10:11], v[10:11], v[72:73]
	v_add_f64_e32 v[12:13], v[12:13], v[74:75]
	v_fma_f64 v[46:47], v[46:47], s[8:9], v[18:19]
	v_fma_f64 v[64:65], v[85:86], -0.5, v[81:82]
	v_fma_f64 v[48:49], v[48:49], s[8:9], v[20:21]
	v_fma_f64 v[18:19], v[36:37], s[10:11], v[22:23]
	v_fma_f64 v[20:21], v[54:55], s[10:11], v[24:25]
	v_fma_f64 v[22:23], v[50:51], s[10:11], v[26:27]
	v_fma_f64 v[26:27], v[42:43], s[8:9], v[28:29]
	v_fma_f64 v[28:29], v[44:45], s[8:9], v[30:31]
	v_fma_f64 v[24:25], v[32:33], s[10:11], v[38:39]
	v_fma_f64 v[30:31], v[34:35], s[10:11], v[56:57]
	v_fma_f64 v[66:67], v[87:88], -0.5, v[83:84]
	v_fma_f64 v[32:33], v[52:53], s[10:11], v[58:59]
	v_fma_f64 v[34:35], v[8:9], s[8:9], v[2:3]
	;; [unrolled: 1-line block ×3, first 2 shown]
	v_mul_f64_e32 v[38:39], s[0:1], v[60:61]
	v_mul_f64_e32 v[42:43], s[0:1], v[62:63]
	v_add_f64_e32 v[40:41], v[40:41], v[10:11]
	v_add_f64_e32 v[44:45], v[14:15], v[12:13]
	v_fma_f64 v[0:1], v[62:63], s[0:1], v[64:65]
	v_add_f64_e32 v[8:9], v[48:49], v[18:19]
	v_add_f64_e64 v[10:11], v[20:21], -v[46:47]
	v_add_f64_e32 v[12:13], v[28:29], v[24:25]
	v_add_f64_e64 v[14:15], v[30:31], -v[26:27]
	v_fma_f64 v[2:3], v[60:61], s[4:5], v[66:67]
	v_add_f64_e32 v[16:17], v[34:35], v[22:23]
	v_add_f64_e64 v[18:19], v[32:33], -v[36:37]
	v_add_f64_e32 v[4:5], v[4:5], v[40:41]
	v_add_f64_e32 v[6:7], v[6:7], v[44:45]
	v_fma_f64 v[20:21], v[42:43], -2.0, v[0:1]
	v_fma_f64 v[24:25], v[48:49], -2.0, v[8:9]
	;; [unrolled: 1-line block ×3, first 2 shown]
	v_fma_f64 v[30:31], v[26:27], 2.0, v[14:15]
	v_fma_f64 v[26:27], v[46:47], 2.0, v[10:11]
	;; [unrolled: 1-line block ×3, first 2 shown]
	v_fma_f64 v[32:33], v[34:35], -2.0, v[16:17]
	v_fma_f64 v[34:35], v[36:37], 2.0, v[18:19]
	ds_store_b128 v147, v[4:7]
	ds_store_b128 v147, v[8:11] offset:544
	ds_store_b128 v147, v[16:19] offset:1088
	;; [unrolled: 1-line block ×8, first 2 shown]
	global_wb scope:SCOPE_SE
	s_wait_dscnt 0x0
	s_barrier_signal -1
	s_barrier_wait -1
	global_inv scope:SCOPE_SE
	s_and_saveexec_b32 s0, vcc_lo
	s_cbranch_execz .LBB0_28
; %bb.27:
	v_mul_lo_u32 v2, s3, v78
	v_mul_lo_u32 v3, s2, v79
	v_mad_co_u64_u32 v[0:1], null, s2, v78, 0
	v_dual_mov_b32 v81, 0 :: v_dual_add_nc_u32 v10, 34, v80
	v_lshlrev_b64_e32 v[8:9], 4, v[76:77]
	v_lshl_add_u32 v28, v80, 4, v145
	s_delay_alu instid0(VALU_DEP_3) | instskip(SKIP_4) | instid1(VALU_DEP_4)
	v_dual_mov_b32 v11, v81 :: v_dual_add_nc_u32 v12, 0x44, v80
	v_add3_u32 v1, v1, v3, v2
	v_lshlrev_b64_e32 v[14:15], 4, v[80:81]
	v_dual_mov_b32 v13, v81 :: v_dual_add_nc_u32 v22, 0x66, v80
	v_dual_mov_b32 v23, v81 :: v_dual_add_nc_u32 v24, 0x88, v80
	v_lshlrev_b64_e32 v[16:17], 4, v[0:1]
	ds_load_b128 v[0:3], v28
	ds_load_b128 v[4:7], v28 offset:544
	v_mov_b32_e32 v25, v81
	v_lshlrev_b64_e32 v[22:23], 4, v[22:23]
	v_add_co_u32 v18, vcc_lo, s6, v16
	s_wait_alu 0xfffd
	v_add_co_ci_u32_e32 v19, vcc_lo, s7, v17, vcc_lo
	v_lshlrev_b64_e32 v[16:17], 4, v[10:11]
	s_delay_alu instid0(VALU_DEP_3) | instskip(SKIP_1) | instid1(VALU_DEP_3)
	v_add_co_u32 v30, vcc_lo, v18, v8
	s_wait_alu 0xfffd
	v_add_co_ci_u32_e32 v31, vcc_lo, v19, v9, vcc_lo
	v_lshlrev_b64_e32 v[18:19], 4, v[12:13]
	s_delay_alu instid0(VALU_DEP_3) | instskip(SKIP_1) | instid1(VALU_DEP_3)
	v_add_co_u32 v20, vcc_lo, v30, v14
	s_wait_alu 0xfffd
	v_add_co_ci_u32_e32 v21, vcc_lo, v31, v15, vcc_lo
	ds_load_b128 v[8:11], v28 offset:1088
	ds_load_b128 v[12:15], v28 offset:1632
	v_add_co_u32 v16, vcc_lo, v30, v16
	s_wait_alu 0xfffd
	v_add_co_ci_u32_e32 v17, vcc_lo, v31, v17, vcc_lo
	v_add_co_u32 v18, vcc_lo, v30, v18
	s_wait_alu 0xfffd
	v_add_co_ci_u32_e32 v19, vcc_lo, v31, v19, vcc_lo
	v_add_co_u32 v22, vcc_lo, v30, v22
	s_wait_dscnt 0x3
	global_store_b128 v[20:21], v[0:3], off
	s_wait_dscnt 0x2
	global_store_b128 v[16:17], v[4:7], off
	v_dual_mov_b32 v3, v81 :: v_dual_add_nc_u32 v2, 0xaa, v80
	s_wait_alu 0xfffd
	v_add_co_ci_u32_e32 v23, vcc_lo, v31, v23, vcc_lo
	v_lshlrev_b64_e32 v[0:1], 4, v[24:25]
	s_wait_dscnt 0x1
	global_store_b128 v[18:19], v[8:11], off
	s_wait_dscnt 0x0
	global_store_b128 v[22:23], v[12:15], off
	v_add_nc_u32_e32 v10, 0xcc, v80
	v_lshlrev_b64_e32 v[8:9], 4, v[2:3]
	v_add_co_u32 v20, vcc_lo, v30, v0
	v_dual_mov_b32 v11, v81 :: v_dual_add_nc_u32 v24, 0xee, v80
	s_wait_alu 0xfffd
	v_add_co_ci_u32_e32 v21, vcc_lo, v31, v1, vcc_lo
	s_delay_alu instid0(VALU_DEP_4)
	v_add_co_u32 v22, vcc_lo, v30, v8
	ds_load_b128 v[0:3], v28 offset:2176
	ds_load_b128 v[4:7], v28 offset:2720
	s_wait_alu 0xfffd
	v_add_co_ci_u32_e32 v23, vcc_lo, v31, v9, vcc_lo
	v_lshlrev_b64_e32 v[26:27], 4, v[10:11]
	ds_load_b128 v[8:11], v28 offset:3264
	ds_load_b128 v[12:15], v28 offset:3808
	;; [unrolled: 1-line block ×3, first 2 shown]
	v_add_nc_u32_e32 v80, 0x110, v80
	v_lshlrev_b64_e32 v[24:25], 4, v[24:25]
	v_add_co_u32 v26, vcc_lo, v30, v26
	s_delay_alu instid0(VALU_DEP_3) | instskip(SKIP_2) | instid1(VALU_DEP_4)
	v_lshlrev_b64_e32 v[28:29], 4, v[80:81]
	s_wait_alu 0xfffd
	v_add_co_ci_u32_e32 v27, vcc_lo, v31, v27, vcc_lo
	v_add_co_u32 v24, vcc_lo, v30, v24
	s_wait_alu 0xfffd
	v_add_co_ci_u32_e32 v25, vcc_lo, v31, v25, vcc_lo
	v_add_co_u32 v28, vcc_lo, v30, v28
	s_wait_alu 0xfffd
	v_add_co_ci_u32_e32 v29, vcc_lo, v31, v29, vcc_lo
	s_wait_dscnt 0x4
	global_store_b128 v[20:21], v[0:3], off
	s_wait_dscnt 0x3
	global_store_b128 v[22:23], v[4:7], off
	;; [unrolled: 2-line block ×5, first 2 shown]
.LBB0_28:
	s_nop 0
	s_sendmsg sendmsg(MSG_DEALLOC_VGPRS)
	s_endpgm
	.section	.rodata,"a",@progbits
	.p2align	6, 0x0
	.amdhsa_kernel fft_rtc_fwd_len306_factors_17_2_9_wgs_238_tpt_34_halfLds_dp_op_CI_CI_unitstride_sbrr_C2R_dirReg
		.amdhsa_group_segment_fixed_size 0
		.amdhsa_private_segment_fixed_size 0
		.amdhsa_kernarg_size 104
		.amdhsa_user_sgpr_count 2
		.amdhsa_user_sgpr_dispatch_ptr 0
		.amdhsa_user_sgpr_queue_ptr 0
		.amdhsa_user_sgpr_kernarg_segment_ptr 1
		.amdhsa_user_sgpr_dispatch_id 0
		.amdhsa_user_sgpr_private_segment_size 0
		.amdhsa_wavefront_size32 1
		.amdhsa_uses_dynamic_stack 0
		.amdhsa_enable_private_segment 0
		.amdhsa_system_sgpr_workgroup_id_x 1
		.amdhsa_system_sgpr_workgroup_id_y 0
		.amdhsa_system_sgpr_workgroup_id_z 0
		.amdhsa_system_sgpr_workgroup_info 0
		.amdhsa_system_vgpr_workitem_id 0
		.amdhsa_next_free_vgpr 223
		.amdhsa_next_free_sgpr 58
		.amdhsa_reserve_vcc 1
		.amdhsa_float_round_mode_32 0
		.amdhsa_float_round_mode_16_64 0
		.amdhsa_float_denorm_mode_32 3
		.amdhsa_float_denorm_mode_16_64 3
		.amdhsa_fp16_overflow 0
		.amdhsa_workgroup_processor_mode 1
		.amdhsa_memory_ordered 1
		.amdhsa_forward_progress 0
		.amdhsa_round_robin_scheduling 0
		.amdhsa_exception_fp_ieee_invalid_op 0
		.amdhsa_exception_fp_denorm_src 0
		.amdhsa_exception_fp_ieee_div_zero 0
		.amdhsa_exception_fp_ieee_overflow 0
		.amdhsa_exception_fp_ieee_underflow 0
		.amdhsa_exception_fp_ieee_inexact 0
		.amdhsa_exception_int_div_zero 0
	.end_amdhsa_kernel
	.text
.Lfunc_end0:
	.size	fft_rtc_fwd_len306_factors_17_2_9_wgs_238_tpt_34_halfLds_dp_op_CI_CI_unitstride_sbrr_C2R_dirReg, .Lfunc_end0-fft_rtc_fwd_len306_factors_17_2_9_wgs_238_tpt_34_halfLds_dp_op_CI_CI_unitstride_sbrr_C2R_dirReg
                                        ; -- End function
	.section	.AMDGPU.csdata,"",@progbits
; Kernel info:
; codeLenInByte = 11204
; NumSgprs: 60
; NumVgprs: 223
; ScratchSize: 0
; MemoryBound: 0
; FloatMode: 240
; IeeeMode: 1
; LDSByteSize: 0 bytes/workgroup (compile time only)
; SGPRBlocks: 7
; VGPRBlocks: 27
; NumSGPRsForWavesPerEU: 60
; NumVGPRsForWavesPerEU: 223
; Occupancy: 6
; WaveLimiterHint : 1
; COMPUTE_PGM_RSRC2:SCRATCH_EN: 0
; COMPUTE_PGM_RSRC2:USER_SGPR: 2
; COMPUTE_PGM_RSRC2:TRAP_HANDLER: 0
; COMPUTE_PGM_RSRC2:TGID_X_EN: 1
; COMPUTE_PGM_RSRC2:TGID_Y_EN: 0
; COMPUTE_PGM_RSRC2:TGID_Z_EN: 0
; COMPUTE_PGM_RSRC2:TIDIG_COMP_CNT: 0
	.text
	.p2alignl 7, 3214868480
	.fill 96, 4, 3214868480
	.type	__hip_cuid_5d01b2f27dcbf924,@object ; @__hip_cuid_5d01b2f27dcbf924
	.section	.bss,"aw",@nobits
	.globl	__hip_cuid_5d01b2f27dcbf924
__hip_cuid_5d01b2f27dcbf924:
	.byte	0                               ; 0x0
	.size	__hip_cuid_5d01b2f27dcbf924, 1

	.ident	"AMD clang version 19.0.0git (https://github.com/RadeonOpenCompute/llvm-project roc-6.4.0 25133 c7fe45cf4b819c5991fe208aaa96edf142730f1d)"
	.section	".note.GNU-stack","",@progbits
	.addrsig
	.addrsig_sym __hip_cuid_5d01b2f27dcbf924
	.amdgpu_metadata
---
amdhsa.kernels:
  - .args:
      - .actual_access:  read_only
        .address_space:  global
        .offset:         0
        .size:           8
        .value_kind:     global_buffer
      - .offset:         8
        .size:           8
        .value_kind:     by_value
      - .actual_access:  read_only
        .address_space:  global
        .offset:         16
        .size:           8
        .value_kind:     global_buffer
      - .actual_access:  read_only
        .address_space:  global
        .offset:         24
        .size:           8
        .value_kind:     global_buffer
      - .actual_access:  read_only
        .address_space:  global
        .offset:         32
        .size:           8
        .value_kind:     global_buffer
      - .offset:         40
        .size:           8
        .value_kind:     by_value
      - .actual_access:  read_only
        .address_space:  global
        .offset:         48
        .size:           8
        .value_kind:     global_buffer
      - .actual_access:  read_only
        .address_space:  global
        .offset:         56
        .size:           8
        .value_kind:     global_buffer
      - .offset:         64
        .size:           4
        .value_kind:     by_value
      - .actual_access:  read_only
        .address_space:  global
        .offset:         72
        .size:           8
        .value_kind:     global_buffer
      - .actual_access:  read_only
        .address_space:  global
        .offset:         80
        .size:           8
        .value_kind:     global_buffer
      - .actual_access:  read_only
        .address_space:  global
        .offset:         88
        .size:           8
        .value_kind:     global_buffer
      - .actual_access:  write_only
        .address_space:  global
        .offset:         96
        .size:           8
        .value_kind:     global_buffer
    .group_segment_fixed_size: 0
    .kernarg_segment_align: 8
    .kernarg_segment_size: 104
    .language:       OpenCL C
    .language_version:
      - 2
      - 0
    .max_flat_workgroup_size: 238
    .name:           fft_rtc_fwd_len306_factors_17_2_9_wgs_238_tpt_34_halfLds_dp_op_CI_CI_unitstride_sbrr_C2R_dirReg
    .private_segment_fixed_size: 0
    .sgpr_count:     60
    .sgpr_spill_count: 0
    .symbol:         fft_rtc_fwd_len306_factors_17_2_9_wgs_238_tpt_34_halfLds_dp_op_CI_CI_unitstride_sbrr_C2R_dirReg.kd
    .uniform_work_group_size: 1
    .uses_dynamic_stack: false
    .vgpr_count:     223
    .vgpr_spill_count: 0
    .wavefront_size: 32
    .workgroup_processor_mode: 1
amdhsa.target:   amdgcn-amd-amdhsa--gfx1201
amdhsa.version:
  - 1
  - 2
...

	.end_amdgpu_metadata
